;; amdgpu-corpus repo=ROCm/rocFFT kind=compiled arch=gfx1030 opt=O3
	.text
	.amdgcn_target "amdgcn-amd-amdhsa--gfx1030"
	.amdhsa_code_object_version 6
	.protected	bluestein_single_fwd_len448_dim1_half_op_CI_CI ; -- Begin function bluestein_single_fwd_len448_dim1_half_op_CI_CI
	.globl	bluestein_single_fwd_len448_dim1_half_op_CI_CI
	.p2align	8
	.type	bluestein_single_fwd_len448_dim1_half_op_CI_CI,@function
bluestein_single_fwd_len448_dim1_half_op_CI_CI: ; @bluestein_single_fwd_len448_dim1_half_op_CI_CI
; %bb.0:
	s_load_dwordx4 s[0:3], s[4:5], 0x28
	v_lshrrev_b32_e32 v1, 6, v0
	v_mov_b32_e32 v12, 0
	v_lshl_or_b32 v11, s6, 1, v1
	s_waitcnt lgkmcnt(0)
	v_cmp_gt_u64_e32 vcc_lo, s[0:1], v[11:12]
	s_and_saveexec_b32 s0, vcc_lo
	s_cbranch_execz .LBB0_23
; %bb.1:
	s_clause 0x1
	s_load_dwordx2 s[10:11], s[4:5], 0x0
	s_load_dwordx2 s[8:9], s[4:5], 0x38
	v_and_b32_e32 v1, 1, v1
	v_and_b32_e32 v23, 63, v0
	v_cmp_eq_u32_e32 vcc_lo, 1, v1
	v_lshlrev_b32_e32 v22, 2, v23
	v_cndmask_b32_e64 v24, 0, 0x1c0, vcc_lo
	v_cmp_gt_u32_e32 vcc_lo, 56, v23
	v_or_b32_e32 v6, v24, v23
	s_and_saveexec_b32 s1, vcc_lo
	s_cbranch_execz .LBB0_3
; %bb.2:
	s_load_dwordx2 s[6:7], s[4:5], 0x18
	v_lshl_add_u32 v26, v24, 2, v22
	v_lshlrev_b32_e32 v19, 2, v6
	s_waitcnt lgkmcnt(0)
	s_load_dwordx4 s[12:15], s[6:7], 0x0
	s_waitcnt lgkmcnt(0)
	v_mad_u64_u32 v[0:1], null, s14, v11, 0
	v_mad_u64_u32 v[2:3], null, s12, v23, 0
	s_mul_i32 s6, s13, 0xe0
	s_mul_hi_u32 s7, s12, 0xe0
	s_add_i32 s7, s7, s6
	v_mad_u64_u32 v[4:5], null, s15, v11, v[1:2]
	v_mad_u64_u32 v[7:8], null, s13, v23, v[3:4]
	v_mov_b32_e32 v1, v4
	v_lshlrev_b64 v[0:1], 2, v[0:1]
	v_mov_b32_e32 v3, v7
	v_add_co_u32 v0, s0, s2, v0
	v_lshlrev_b64 v[2:3], 2, v[2:3]
	v_add_co_ci_u32_e64 v1, s0, s3, v1, s0
	s_mul_i32 s2, s12, 0xe0
	v_add_co_u32 v0, s0, v0, v2
	v_add_co_ci_u32_e64 v1, s0, v1, v3, s0
	v_add_co_u32 v2, s0, v0, s2
	v_add_co_ci_u32_e64 v3, s0, s7, v1, s0
	s_clause 0x1
	global_load_dword v4, v[0:1], off
	global_load_dword v5, v[2:3], off
	v_add_co_u32 v0, s0, v2, s2
	v_add_co_ci_u32_e64 v1, s0, s7, v3, s0
	s_clause 0x4
	global_load_dword v7, v22, s[10:11]
	global_load_dword v8, v22, s[10:11] offset:224
	global_load_dword v9, v22, s[10:11] offset:448
	;; [unrolled: 1-line block ×4, first 2 shown]
	v_add_co_u32 v2, s0, v0, s2
	v_add_co_ci_u32_e64 v3, s0, s7, v1, s0
	s_clause 0x1
	global_load_dword v13, v[0:1], off
	global_load_dword v14, v[2:3], off
	v_add_co_u32 v0, s0, v2, s2
	v_add_co_ci_u32_e64 v1, s0, s7, v3, s0
	v_add_co_u32 v2, s0, v0, s2
	v_add_co_ci_u32_e64 v3, s0, s7, v1, s0
	global_load_dword v15, v[0:1], off
	v_add_co_u32 v0, s0, v2, s2
	v_add_co_ci_u32_e64 v1, s0, s7, v3, s0
	global_load_dword v16, v[2:3], off
	v_add_co_u32 v2, s0, v0, s2
	v_add_co_ci_u32_e64 v3, s0, s7, v1, s0
	global_load_dword v17, v22, s[10:11] offset:1120
	global_load_dword v0, v[0:1], off
	global_load_dword v1, v[2:3], off
	s_clause 0x1
	global_load_dword v2, v22, s[10:11] offset:1344
	global_load_dword v3, v22, s[10:11] offset:1568
	s_waitcnt vmcnt(15)
	v_lshrrev_b32_e32 v18, 16, v4
	s_waitcnt vmcnt(14)
	v_lshrrev_b32_e32 v25, 16, v5
	s_waitcnt vmcnt(13)
	v_mul_f16_sdwa v20, v7, v4 dst_sel:DWORD dst_unused:UNUSED_PAD src0_sel:WORD_1 src1_sel:DWORD
	s_waitcnt vmcnt(12)
	v_mul_f16_sdwa v27, v8, v5 dst_sel:DWORD dst_unused:UNUSED_PAD src0_sel:WORD_1 src1_sel:DWORD
	v_mul_f16_sdwa v21, v7, v18 dst_sel:DWORD dst_unused:UNUSED_PAD src0_sel:WORD_1 src1_sel:DWORD
	v_fma_f16 v18, v7, v18, -v20
	v_fma_f16 v20, v8, v25, -v27
	v_fmac_f16_e32 v21, v7, v4
	v_mul_f16_sdwa v4, v8, v25 dst_sel:DWORD dst_unused:UNUSED_PAD src0_sel:WORD_1 src1_sel:DWORD
	s_waitcnt vmcnt(8)
	v_lshrrev_b32_e32 v7, 16, v13
	v_mul_f16_sdwa v25, v9, v13 dst_sel:DWORD dst_unused:UNUSED_PAD src0_sel:WORD_1 src1_sel:DWORD
	v_pack_b32_f16 v18, v21, v18
	v_fmac_f16_e32 v4, v8, v5
	v_mul_f16_sdwa v5, v9, v7 dst_sel:DWORD dst_unused:UNUSED_PAD src0_sel:WORD_1 src1_sel:DWORD
	s_waitcnt vmcnt(7)
	v_lshrrev_b32_e32 v8, 16, v14
	v_fma_f16 v7, v9, v7, -v25
	v_mul_f16_sdwa v21, v10, v14 dst_sel:DWORD dst_unused:UNUSED_PAD src0_sel:WORD_1 src1_sel:DWORD
	v_pack_b32_f16 v4, v4, v20
	v_fmac_f16_e32 v5, v9, v13
	v_mul_f16_sdwa v9, v10, v8 dst_sel:DWORD dst_unused:UNUSED_PAD src0_sel:WORD_1 src1_sel:DWORD
	s_waitcnt vmcnt(6)
	v_lshrrev_b32_e32 v13, 16, v15
	v_mul_f16_sdwa v20, v12, v15 dst_sel:DWORD dst_unused:UNUSED_PAD src0_sel:WORD_1 src1_sel:DWORD
	v_fma_f16 v8, v10, v8, -v21
	v_pack_b32_f16 v5, v5, v7
	v_fmac_f16_e32 v9, v10, v14
	v_mul_f16_sdwa v7, v12, v13 dst_sel:DWORD dst_unused:UNUSED_PAD src0_sel:WORD_1 src1_sel:DWORD
	v_fma_f16 v10, v12, v13, -v20
	s_waitcnt vmcnt(5)
	v_lshrrev_b32_e32 v13, 16, v16
	s_waitcnt vmcnt(4)
	v_mul_f16_sdwa v14, v17, v16 dst_sel:DWORD dst_unused:UNUSED_PAD src0_sel:WORD_1 src1_sel:DWORD
	v_pack_b32_f16 v8, v9, v8
	s_waitcnt vmcnt(3)
	v_lshrrev_b32_e32 v9, 16, v0
	v_fmac_f16_e32 v7, v12, v15
	s_waitcnt vmcnt(2)
	v_lshrrev_b32_e32 v12, 16, v1
	v_mul_f16_sdwa v15, v17, v13 dst_sel:DWORD dst_unused:UNUSED_PAD src0_sel:WORD_1 src1_sel:DWORD
	v_fma_f16 v13, v17, v13, -v14
	s_waitcnt vmcnt(1)
	v_mul_f16_sdwa v14, v2, v0 dst_sel:DWORD dst_unused:UNUSED_PAD src0_sel:WORD_1 src1_sel:DWORD
	v_mul_f16_sdwa v20, v2, v9 dst_sel:DWORD dst_unused:UNUSED_PAD src0_sel:WORD_1 src1_sel:DWORD
	s_waitcnt vmcnt(0)
	v_mul_f16_sdwa v21, v3, v12 dst_sel:DWORD dst_unused:UNUSED_PAD src0_sel:WORD_1 src1_sel:DWORD
	v_mul_f16_sdwa v25, v3, v1 dst_sel:DWORD dst_unused:UNUSED_PAD src0_sel:WORD_1 src1_sel:DWORD
	v_fmac_f16_e32 v15, v17, v16
	v_fma_f16 v9, v2, v9, -v14
	v_fmac_f16_e32 v20, v2, v0
	v_fmac_f16_e32 v21, v3, v1
	v_fma_f16 v0, v3, v12, -v25
	v_pack_b32_f16 v1, v7, v10
	v_pack_b32_f16 v2, v15, v13
	;; [unrolled: 1-line block ×3, first 2 shown]
	v_add_nc_u32_e32 v7, 0x400, v26
	v_pack_b32_f16 v0, v21, v0
	ds_write_b32 v19, v18
	ds_write2_b32 v26, v4, v5 offset0:56 offset1:112
	ds_write2_b32 v26, v8, v1 offset0:168 offset1:224
	;; [unrolled: 1-line block ×3, first 2 shown]
	ds_write_b32 v26, v0 offset:1568
.LBB0_3:
	s_or_b32 exec_lo, exec_lo, s1
	s_clause 0x1
	s_load_dwordx2 s[2:3], s[4:5], 0x20
	s_load_dwordx2 s[0:1], s[4:5], 0x8
	v_lshlrev_b32_e32 v26, 2, v24
	s_waitcnt lgkmcnt(0)
	s_barrier
	buffer_gl0_inv
                                        ; implicit-def: $vgpr7
                                        ; implicit-def: $vgpr1
                                        ; implicit-def: $vgpr3
                                        ; implicit-def: $vgpr5
                                        ; implicit-def: $vgpr10
	s_and_saveexec_b32 s4, vcc_lo
	s_cbranch_execz .LBB0_5
; %bb.4:
	v_lshl_add_u32 v8, v23, 2, v26
	v_lshlrev_b32_e32 v7, 2, v6
	v_add_nc_u32_e32 v4, 0x400, v8
	ds_read2_b32 v[2:3], v8 offset0:56 offset1:112
	ds_read2_b32 v[0:1], v8 offset0:168 offset1:224
	;; [unrolled: 1-line block ×3, first 2 shown]
	ds_read_b32 v7, v7
	ds_read_b32 v10, v8 offset:1568
.LBB0_5:
	s_or_b32 exec_lo, exec_lo, s4
	s_waitcnt lgkmcnt(1)
	v_pk_add_f16 v9, v7, v1 neg_lo:[0,1] neg_hi:[0,1]
	v_pk_add_f16 v8, v2, v4 neg_lo:[0,1] neg_hi:[0,1]
	;; [unrolled: 1-line block ×3, first 2 shown]
	s_waitcnt lgkmcnt(0)
	v_pk_add_f16 v5, v0, v10 neg_lo:[0,1] neg_hi:[0,1]
	v_lshlrev_b32_e32 v27, 3, v23
	v_lshrrev_b32_e32 v4, 16, v9
	v_lshrrev_b32_e32 v13, 16, v8
	v_sub_f16_sdwa v10, v9, v12 dst_sel:DWORD dst_unused:UNUSED_PAD src0_sel:DWORD src1_sel:WORD_1
	v_sub_f16_sdwa v16, v8, v5 dst_sel:DWORD dst_unused:UNUSED_PAD src0_sel:DWORD src1_sel:WORD_1
	v_add_f16_e32 v1, v12, v4
	v_add_f16_e32 v14, v5, v13
	s_barrier
	v_fmamk_f16 v15, v16, 0x39a8, v10
	buffer_gl0_inv
	v_fmamk_f16 v29, v14, 0x39a8, v1
	v_fmac_f16_e32 v15, 0xb9a8, v14
	v_fmac_f16_e32 v29, 0x39a8, v16
	s_and_saveexec_b32 s4, vcc_lo
	s_cbranch_execz .LBB0_7
; %bb.6:
	v_pk_fma_f16 v7, v7, 2.0, v9 op_sel_hi:[1,0,1] neg_lo:[0,0,1] neg_hi:[0,0,1]
	v_pk_fma_f16 v3, v3, 2.0, v12 op_sel_hi:[1,0,1] neg_lo:[0,0,1] neg_hi:[0,0,1]
	v_fma_f16 v17, v9, 2.0, -v10
	v_fma_f16 v16, v8, 2.0, -v16
	v_pk_fma_f16 v2, v2, 2.0, v8 op_sel_hi:[1,0,1] neg_lo:[0,0,1] neg_hi:[0,0,1]
	v_pk_fma_f16 v0, v0, 2.0, v5 op_sel_hi:[1,0,1] neg_lo:[0,0,1] neg_hi:[0,0,1]
	v_fma_f16 v8, v13, 2.0, -v14
	v_pk_add_f16 v3, v7, v3 neg_lo:[0,1] neg_hi:[0,1]
	v_fma_f16 v4, v4, 2.0, -v1
	v_fmamk_f16 v5, v16, 0xb9a8, v17
	v_pk_add_f16 v0, v2, v0 neg_lo:[0,1] neg_hi:[0,1]
	v_fma_f16 v10, v10, 2.0, -v15
	v_lshrrev_b32_e32 v9, 16, v3
	v_fmamk_f16 v12, v8, 0xb9a8, v4
	v_fmac_f16_e32 v5, 0xb9a8, v8
	v_sub_f16_sdwa v13, v3, v0 dst_sel:DWORD dst_unused:UNUSED_PAD src0_sel:DWORD src1_sel:WORD_1
	v_pk_fma_f16 v7, v7, 2.0, v3 op_sel_hi:[1,0,1] neg_lo:[0,0,1] neg_hi:[0,0,1]
	v_pk_fma_f16 v2, v2, 2.0, v0 op_sel_hi:[1,0,1] neg_lo:[0,0,1] neg_hi:[0,0,1]
	v_add_f16_e32 v14, v0, v9
	v_fmac_f16_e32 v12, 0x39a8, v16
	v_fma_f16 v8, v17, 2.0, -v5
	v_fma_f16 v3, v3, 2.0, -v13
	v_pk_add_f16 v0, v7, v2 neg_lo:[0,1] neg_hi:[0,1]
	v_fma_f16 v2, v9, 2.0, -v14
	v_fma_f16 v4, v4, 2.0, -v12
	v_fma_f16 v1, v1, 2.0, -v29
	v_add_lshl_u32 v16, v24, v27, 2
	v_pk_fma_f16 v7, v7, 2.0, v0 op_sel_hi:[1,0,1] neg_lo:[0,0,1] neg_hi:[0,0,1]
	v_pack_b32_f16 v9, v3, v2
	v_pack_b32_f16 v8, v8, v4
	;; [unrolled: 1-line block ×5, first 2 shown]
	v_perm_b32 v3, v29, v15, 0x5040100
	ds_write_b128 v16, v[7:10]
	ds_write_b128 v16, v[0:3] offset:16
.LBB0_7:
	s_or_b32 exec_lo, exec_lo, s4
	v_and_b32_e32 v10, 7, v23
	s_load_dwordx4 s[4:7], s[2:3], 0x0
	s_waitcnt lgkmcnt(0)
	s_barrier
	buffer_gl0_inv
	v_mul_u32_u24_e32 v0, 6, v10
	v_lshlrev_b32_e32 v25, 2, v6
	v_lshrrev_b32_e32 v14, 3, v23
	v_lshlrev_b32_e32 v4, 2, v0
	s_clause 0x1
	global_load_dwordx4 v[0:3], v4, s[0:1]
	global_load_dwordx2 v[12:13], v4, s[0:1] offset:16
	ds_read2st64_b32 v[4:5], v25 offset1:1
	ds_read2st64_b32 v[6:7], v25 offset0:2 offset1:3
	ds_read2st64_b32 v[8:9], v25 offset0:4 offset1:5
	ds_read_b32 v16, v25 offset:1536
	v_mul_u32_u24_e32 v14, 56, v14
	s_waitcnt vmcnt(0) lgkmcnt(0)
	s_barrier
	buffer_gl0_inv
	v_or_b32_e32 v10, v14, v10
	v_add_lshl_u32 v28, v24, v10, 2
	v_lshrrev_b32_e32 v10, 16, v5
	v_lshrrev_b32_e32 v14, 16, v6
	;; [unrolled: 1-line block ×6, first 2 shown]
	v_mul_f16_sdwa v21, v10, v0 dst_sel:DWORD dst_unused:UNUSED_PAD src0_sel:DWORD src1_sel:WORD_1
	v_mul_f16_sdwa v30, v5, v0 dst_sel:DWORD dst_unused:UNUSED_PAD src0_sel:DWORD src1_sel:WORD_1
	;; [unrolled: 1-line block ×12, first 2 shown]
	v_fma_f16 v5, v5, v0, -v21
	v_fmac_f16_e32 v30, v10, v0
	v_fma_f16 v6, v6, v1, -v31
	v_fmac_f16_e32 v32, v14, v1
	;; [unrolled: 2-line block ×6, first 2 shown]
	v_add_f16_e32 v14, v5, v10
	v_add_f16_e32 v16, v30, v40
	;; [unrolled: 1-line block ×4, first 2 shown]
	v_sub_f16_e32 v5, v5, v10
	v_sub_f16_e32 v10, v30, v40
	;; [unrolled: 1-line block ×4, first 2 shown]
	v_add_f16_e32 v19, v7, v8
	v_add_f16_e32 v20, v34, v36
	v_sub_f16_e32 v7, v8, v7
	v_sub_f16_e32 v8, v36, v34
	v_add_f16_e32 v21, v17, v14
	v_add_f16_e32 v30, v18, v16
	v_sub_f16_e32 v31, v17, v14
	v_sub_f16_e32 v32, v18, v16
	;; [unrolled: 1-line block ×6, first 2 shown]
	v_add_f16_e32 v34, v8, v9
	v_sub_f16_e32 v35, v7, v6
	v_sub_f16_e32 v36, v8, v9
	;; [unrolled: 1-line block ×3, first 2 shown]
	v_add_f16_e32 v19, v19, v21
	v_add_f16_e32 v20, v20, v30
	;; [unrolled: 1-line block ×3, first 2 shown]
	v_sub_f16_e32 v6, v6, v5
	v_sub_f16_e32 v7, v5, v7
	;; [unrolled: 1-line block ×3, first 2 shown]
	v_mul_f16_e32 v14, 0x3a52, v14
	v_mul_f16_e32 v21, 0x3a52, v16
	;; [unrolled: 1-line block ×5, first 2 shown]
	v_add_f16_e32 v16, v4, v19
	v_add_f16_sdwa v30, v4, v20 dst_sel:DWORD dst_unused:UNUSED_PAD src0_sel:WORD_1 src1_sel:DWORD
	v_add_f16_e32 v5, v33, v5
	v_add_f16_e32 v10, v34, v10
	v_mul_f16_e32 v33, 0x2b26, v17
	v_mul_f16_e32 v34, 0x2b26, v18
	v_mul_f16_e32 v37, 0x3b00, v6
	v_fmamk_f16 v4, v17, 0x2b26, v14
	v_fmamk_f16 v17, v18, 0x2b26, v21
	;; [unrolled: 1-line block ×4, first 2 shown]
	v_fma_f16 v9, v9, 0x3b00, -v36
	v_fma_f16 v8, v8, 0xb574, -v38
	v_fmamk_f16 v19, v19, 0xbcab, v16
	v_fmamk_f16 v20, v20, 0xbcab, v30
	v_fma_f16 v18, v31, 0x39e0, -v33
	v_fma_f16 v33, v32, 0x39e0, -v34
	;; [unrolled: 1-line block ×6, first 2 shown]
	v_fmac_f16_e32 v39, 0x370e, v5
	v_fmac_f16_e32 v40, 0x370e, v10
	;; [unrolled: 1-line block ×4, first 2 shown]
	v_add_f16_e32 v4, v4, v19
	v_add_f16_e32 v10, v17, v20
	v_fmac_f16_e32 v6, 0x370e, v5
	v_fmac_f16_e32 v7, 0x370e, v5
	v_add_f16_e32 v34, v18, v19
	v_add_f16_e32 v14, v14, v19
	;; [unrolled: 1-line block ×5, first 2 shown]
	v_sub_f16_e32 v31, v10, v39
	v_add_f16_e32 v18, v8, v14
	v_sub_f16_e32 v32, v35, v7
	v_sub_f16_e32 v19, v34, v9
	v_add_f16_e32 v33, v6, v21
	v_add_f16_e32 v20, v9, v34
	v_sub_f16_e32 v34, v21, v6
	v_sub_f16_e32 v21, v14, v8
	v_add_f16_e32 v35, v7, v35
	v_sub_f16_e32 v14, v4, v40
	v_add_f16_e32 v36, v39, v10
	v_pack_b32_f16 v5, v16, v30
	v_pack_b32_f16 v4, v17, v31
	;; [unrolled: 1-line block ×7, first 2 shown]
	ds_write2_b32 v28, v5, v4 offset1:8
	ds_write2_b32 v28, v6, v7 offset0:16 offset1:24
	ds_write2_b32 v28, v8, v9 offset0:32 offset1:40
	ds_write_b32 v28, v10 offset:192
	s_waitcnt lgkmcnt(0)
	s_barrier
	buffer_gl0_inv
	s_and_saveexec_b32 s2, vcc_lo
	s_cbranch_execz .LBB0_9
; %bb.8:
	v_add_nc_u32_e32 v4, 0x200, v25
	v_add_nc_u32_e32 v5, 0x400, v25
	ds_read2_b32 v[16:17], v25 offset1:56
	ds_read2_b32 v[18:19], v25 offset0:112 offset1:168
	ds_read2_b32 v[20:21], v4 offset0:96 offset1:152
	;; [unrolled: 1-line block ×3, first 2 shown]
	s_waitcnt lgkmcnt(3)
	v_lshrrev_b32_e32 v30, 16, v16
	v_lshrrev_b32_e32 v31, 16, v17
	s_waitcnt lgkmcnt(2)
	v_lshrrev_b32_e32 v32, 16, v18
	v_lshrrev_b32_e32 v33, 16, v19
	;; [unrolled: 3-line block ×4, first 2 shown]
.LBB0_9:
	s_or_b32 exec_lo, exec_lo, s2
	v_subrev_nc_u32_e32 v4, 56, v23
	v_cndmask_b32_e32 v4, v4, v23, vcc_lo
	v_mul_i32_i24_e32 v5, 28, v4
	v_mul_hi_i32_i24_e32 v4, 28, v4
	v_add_co_u32 v8, s0, s0, v5
	v_add_co_ci_u32_e64 v9, s0, s1, v4, s0
	s_clause 0x1
	global_load_dwordx4 v[4:7], v[8:9], off offset:192
	global_load_dwordx3 v[8:10], v[8:9], off offset:208
	s_waitcnt vmcnt(1)
	v_mul_f16_sdwa v37, v31, v4 dst_sel:DWORD dst_unused:UNUSED_PAD src0_sel:DWORD src1_sel:WORD_1
	v_mul_f16_sdwa v38, v17, v4 dst_sel:DWORD dst_unused:UNUSED_PAD src0_sel:DWORD src1_sel:WORD_1
	;; [unrolled: 1-line block ×8, first 2 shown]
	s_waitcnt vmcnt(0)
	v_mul_f16_sdwa v45, v35, v8 dst_sel:DWORD dst_unused:UNUSED_PAD src0_sel:DWORD src1_sel:WORD_1
	v_mul_f16_sdwa v46, v21, v8 dst_sel:DWORD dst_unused:UNUSED_PAD src0_sel:DWORD src1_sel:WORD_1
	v_mul_f16_sdwa v47, v36, v9 dst_sel:DWORD dst_unused:UNUSED_PAD src0_sel:DWORD src1_sel:WORD_1
	v_mul_f16_sdwa v48, v14, v9 dst_sel:DWORD dst_unused:UNUSED_PAD src0_sel:DWORD src1_sel:WORD_1
	v_mul_f16_sdwa v49, v29, v10 dst_sel:DWORD dst_unused:UNUSED_PAD src0_sel:DWORD src1_sel:WORD_1
	v_mul_f16_sdwa v50, v15, v10 dst_sel:DWORD dst_unused:UNUSED_PAD src0_sel:DWORD src1_sel:WORD_1
	v_fma_f16 v17, v17, v4, -v37
	v_fmac_f16_e32 v38, v31, v4
	v_fma_f16 v18, v18, v5, -v39
	v_fmac_f16_e32 v40, v32, v5
	v_fma_f16 v19, v19, v6, -v41
	v_fmac_f16_e32 v42, v33, v6
	v_fma_f16 v20, v20, v7, -v43
	v_fmac_f16_e32 v44, v34, v7
	v_fma_f16 v21, v21, v8, -v45
	v_fmac_f16_e32 v46, v35, v8
	v_fma_f16 v14, v14, v9, -v47
	v_fmac_f16_e32 v48, v36, v9
	v_fma_f16 v15, v15, v10, -v49
	v_fmac_f16_e32 v50, v29, v10
	v_sub_f16_e32 v20, v16, v20
	v_sub_f16_e32 v29, v30, v44
	;; [unrolled: 1-line block ×8, first 2 shown]
	v_fma_f16 v16, v16, 2.0, -v20
	v_fma_f16 v30, v30, 2.0, -v29
	;; [unrolled: 1-line block ×8, first 2 shown]
	v_sub_f16_e32 v31, v20, v31
	v_add_f16_e32 v37, v29, v14
	v_sub_f16_e32 v38, v21, v33
	v_add_f16_e32 v15, v32, v15
	v_sub_f16_e32 v18, v16, v18
	v_sub_f16_e32 v39, v30, v34
	v_fma_f16 v40, v20, 2.0, -v31
	v_fma_f16 v41, v29, 2.0, -v37
	v_sub_f16_e32 v29, v17, v19
	v_sub_f16_e32 v20, v35, v36
	v_fma_f16 v21, v21, 2.0, -v38
	v_fma_f16 v32, v32, 2.0, -v15
	v_fmamk_f16 v14, v38, 0x39a8, v31
	v_fmamk_f16 v33, v15, 0x39a8, v37
	v_fma_f16 v42, v16, 2.0, -v18
	v_fma_f16 v30, v30, 2.0, -v39
	;; [unrolled: 1-line block ×4, first 2 shown]
	v_fmamk_f16 v19, v21, 0xb9a8, v40
	v_fmamk_f16 v34, v32, 0xb9a8, v41
	v_sub_f16_e32 v20, v18, v20
	v_add_f16_e32 v35, v39, v29
	v_fmac_f16_e32 v14, 0xb9a8, v15
	v_fmac_f16_e32 v33, 0x39a8, v38
	v_sub_f16_e32 v16, v42, v16
	v_sub_f16_e32 v36, v30, v17
	v_fmac_f16_e32 v19, 0xb9a8, v32
	v_fmac_f16_e32 v34, 0x39a8, v21
	v_fma_f16 v18, v18, 2.0, -v20
	v_fma_f16 v21, v39, 2.0, -v35
	;; [unrolled: 1-line block ×8, first 2 shown]
	s_and_saveexec_b32 s0, vcc_lo
	s_cbranch_execz .LBB0_11
; %bb.10:
	v_lshl_add_u32 v38, v23, 2, v26
	v_perm_b32 v37, v30, v29, 0x5040100
	v_perm_b32 v39, v31, v17, 0x5040100
	;; [unrolled: 1-line block ×7, first 2 shown]
	v_add_nc_u32_e32 v45, 0x400, v38
	v_perm_b32 v46, v33, v14, 0x5040100
	ds_write_b32 v25, v37
	ds_write2_b32 v38, v39, v40 offset0:56 offset1:112
	ds_write2_b32 v38, v41, v42 offset0:168 offset1:224
	;; [unrolled: 1-line block ×3, first 2 shown]
	ds_write_b32 v38, v46 offset:1568
.LBB0_11:
	s_or_b32 exec_lo, exec_lo, s0
	s_waitcnt lgkmcnt(0)
	s_barrier
	buffer_gl0_inv
	s_and_saveexec_b32 s0, vcc_lo
	s_cbranch_execz .LBB0_13
; %bb.12:
	global_load_dword v37, v22, s[10:11] offset:1792
	s_add_u32 s2, s10, 0x700
	s_addc_u32 s3, s11, 0
	s_clause 0x6
	global_load_dword v43, v22, s[2:3] offset:224
	global_load_dword v44, v22, s[2:3] offset:448
	;; [unrolled: 1-line block ×7, first 2 shown]
	ds_read_b32 v38, v25
	v_lshl_add_u32 v50, v24, 2, v22
	v_add_nc_u32_e32 v51, 0x400, v50
	s_waitcnt lgkmcnt(0)
	v_lshrrev_b32_e32 v39, 16, v38
	s_waitcnt vmcnt(7)
	v_mul_f16_sdwa v40, v39, v37 dst_sel:DWORD dst_unused:UNUSED_PAD src0_sel:DWORD src1_sel:WORD_1
	v_mul_f16_sdwa v41, v38, v37 dst_sel:DWORD dst_unused:UNUSED_PAD src0_sel:DWORD src1_sel:WORD_1
	v_fma_f16 v38, v38, v37, -v40
	v_fmac_f16_e32 v41, v39, v37
	v_pack_b32_f16 v37, v38, v41
	ds_write_b32 v25, v37
	ds_read2_b32 v[37:38], v50 offset0:56 offset1:112
	ds_read2_b32 v[39:40], v50 offset0:168 offset1:224
	;; [unrolled: 1-line block ×3, first 2 shown]
	ds_read_b32 v52, v50 offset:1568
	s_waitcnt lgkmcnt(2)
	v_lshrrev_b32_e32 v57, 16, v39
	v_lshrrev_b32_e32 v53, 16, v37
	s_waitcnt vmcnt(6)
	v_mul_f16_sdwa v54, v37, v43 dst_sel:DWORD dst_unused:UNUSED_PAD src0_sel:DWORD src1_sel:WORD_1
	v_lshrrev_b32_e32 v55, 16, v38
	s_waitcnt vmcnt(5)
	v_mul_f16_sdwa v56, v38, v44 dst_sel:DWORD dst_unused:UNUSED_PAD src0_sel:DWORD src1_sel:WORD_1
	s_waitcnt vmcnt(4)
	v_mul_f16_sdwa v58, v39, v45 dst_sel:DWORD dst_unused:UNUSED_PAD src0_sel:DWORD src1_sel:WORD_1
	v_lshrrev_b32_e32 v59, 16, v40
	s_waitcnt vmcnt(3)
	v_mul_f16_sdwa v60, v40, v46 dst_sel:DWORD dst_unused:UNUSED_PAD src0_sel:DWORD src1_sel:WORD_1
	s_waitcnt lgkmcnt(1)
	v_lshrrev_b32_e32 v61, 16, v41
	s_waitcnt vmcnt(2)
	v_mul_f16_sdwa v62, v41, v47 dst_sel:DWORD dst_unused:UNUSED_PAD src0_sel:DWORD src1_sel:WORD_1
	v_lshrrev_b32_e32 v63, 16, v42
	s_waitcnt vmcnt(1)
	v_mul_f16_sdwa v64, v42, v48 dst_sel:DWORD dst_unused:UNUSED_PAD src0_sel:DWORD src1_sel:WORD_1
	s_waitcnt lgkmcnt(0)
	v_lshrrev_b32_e32 v65, 16, v52
	v_mul_f16_sdwa v67, v53, v43 dst_sel:DWORD dst_unused:UNUSED_PAD src0_sel:DWORD src1_sel:WORD_1
	v_fmac_f16_e32 v54, v53, v43
	v_mul_f16_sdwa v53, v55, v44 dst_sel:DWORD dst_unused:UNUSED_PAD src0_sel:DWORD src1_sel:WORD_1
	v_fmac_f16_e32 v56, v55, v44
	v_mul_f16_sdwa v55, v57, v45 dst_sel:DWORD dst_unused:UNUSED_PAD src0_sel:DWORD src1_sel:WORD_1
	v_fmac_f16_e32 v58, v57, v45
	v_mul_f16_sdwa v57, v59, v46 dst_sel:DWORD dst_unused:UNUSED_PAD src0_sel:DWORD src1_sel:WORD_1
	v_fmac_f16_e32 v60, v59, v46
	v_mul_f16_sdwa v59, v61, v47 dst_sel:DWORD dst_unused:UNUSED_PAD src0_sel:DWORD src1_sel:WORD_1
	v_fmac_f16_e32 v62, v61, v47
	v_mul_f16_sdwa v61, v63, v48 dst_sel:DWORD dst_unused:UNUSED_PAD src0_sel:DWORD src1_sel:WORD_1
	s_waitcnt vmcnt(0)
	v_mul_f16_sdwa v66, v52, v49 dst_sel:DWORD dst_unused:UNUSED_PAD src0_sel:DWORD src1_sel:WORD_1
	v_fmac_f16_e32 v64, v63, v48
	v_mul_f16_sdwa v63, v65, v49 dst_sel:DWORD dst_unused:UNUSED_PAD src0_sel:DWORD src1_sel:WORD_1
	v_fma_f16 v37, v37, v43, -v67
	v_fma_f16 v38, v38, v44, -v53
	;; [unrolled: 1-line block ×6, first 2 shown]
	v_fmac_f16_e32 v66, v65, v49
	v_fma_f16 v43, v52, v49, -v63
	v_pack_b32_f16 v37, v37, v54
	v_pack_b32_f16 v38, v38, v56
	;; [unrolled: 1-line block ×7, first 2 shown]
	ds_write2_b32 v50, v37, v38 offset0:56 offset1:112
	ds_write2_b32 v50, v39, v40 offset0:168 offset1:224
	;; [unrolled: 1-line block ×3, first 2 shown]
	ds_write_b32 v50, v43 offset:1568
.LBB0_13:
	s_or_b32 exec_lo, exec_lo, s0
	s_waitcnt lgkmcnt(0)
	s_barrier
	buffer_gl0_inv
	s_and_saveexec_b32 s0, vcc_lo
	s_cbranch_execz .LBB0_15
; %bb.14:
	v_lshl_add_u32 v14, v23, 2, v26
	v_add_nc_u32_e32 v19, 0x400, v14
	ds_read_b32 v29, v25
	ds_read2_b32 v[17:18], v14 offset0:56 offset1:112
	ds_read2_b32 v[15:16], v14 offset0:168 offset1:224
	;; [unrolled: 1-line block ×3, first 2 shown]
	ds_read_b32 v14, v14 offset:1568
	s_waitcnt lgkmcnt(4)
	v_lshrrev_b32_e32 v30, 16, v29
	s_waitcnt lgkmcnt(3)
	v_lshrrev_b32_e32 v31, 16, v17
	v_lshrrev_b32_e32 v21, 16, v18
	s_waitcnt lgkmcnt(2)
	v_lshrrev_b32_e32 v32, 16, v15
	;; [unrolled: 3-line block ×4, first 2 shown]
.LBB0_15:
	s_or_b32 exec_lo, exec_lo, s0
	v_sub_f16_e32 v37, v29, v16
	v_sub_f16_e32 v36, v30, v36
	;; [unrolled: 1-line block ×8, first 2 shown]
	v_add_f16_e32 v34, v39, v37
	v_sub_f16_e32 v16, v36, v41
	v_add_f16_e32 v38, v42, v35
	v_sub_f16_e32 v33, v20, v40
	s_barrier
	buffer_gl0_inv
	v_fmamk_f16 v14, v38, 0x39a8, v34
	v_fmamk_f16 v19, v33, 0x39a8, v16
	v_fmac_f16_e32 v14, 0x39a8, v33
	v_fmac_f16_e32 v19, 0xb9a8, v38
	s_and_saveexec_b32 s0, vcc_lo
	s_cbranch_execz .LBB0_17
; %bb.16:
	v_fma_f16 v29, v29, 2.0, -v37
	v_fma_f16 v18, v18, 2.0, -v41
	;; [unrolled: 1-line block ×6, first 2 shown]
	v_sub_f16_e32 v18, v29, v18
	v_fma_f16 v17, v17, 2.0, -v35
	v_sub_f16_e32 v32, v31, v32
	v_fma_f16 v15, v15, 2.0, -v40
	v_fma_f16 v41, v34, 2.0, -v14
	;; [unrolled: 1-line block ×4, first 2 shown]
	v_add_f16_e32 v39, v32, v18
	v_sub_f16_e32 v21, v30, v21
	v_sub_f16_e32 v15, v17, v15
	v_fma_f16 v20, v20, 2.0, -v33
	v_fma_f16 v36, v36, 2.0, -v16
	v_fma_f16 v37, v18, 2.0, -v39
	v_fmamk_f16 v33, v35, 0xb9a8, v34
	v_fma_f16 v18, v29, 2.0, -v18
	v_fma_f16 v17, v17, 2.0, -v15
	;; [unrolled: 1-line block ×4, first 2 shown]
	v_fmamk_f16 v32, v20, 0xb9a8, v36
	v_sub_f16_e32 v31, v21, v15
	v_fmac_f16_e32 v33, 0x39a8, v20
	v_sub_f16_e32 v20, v18, v17
	v_sub_f16_e32 v30, v29, v30
	v_fmac_f16_e32 v32, 0xb9a8, v35
	v_fma_f16 v15, v21, 2.0, -v31
	v_fma_f16 v21, v34, 2.0, -v33
	;; [unrolled: 1-line block ×6, first 2 shown]
	v_add_lshl_u32 v27, v24, v27, 2
	v_pack_b32_f16 v17, v37, v15
	v_pack_b32_f16 v15, v18, v29
	;; [unrolled: 1-line block ×7, first 2 shown]
	v_perm_b32 v32, v19, v14, 0x5040100
	ds_write_b128 v27, v[15:18]
	ds_write_b128 v27, v[29:32] offset:16
.LBB0_17:
	s_or_b32 exec_lo, exec_lo, s0
	s_waitcnt lgkmcnt(0)
	s_barrier
	buffer_gl0_inv
	ds_read2st64_b32 v[15:16], v25 offset1:1
	ds_read2st64_b32 v[17:18], v25 offset0:2 offset1:3
	ds_read2st64_b32 v[20:21], v25 offset0:4 offset1:5
	ds_read_b32 v27, v25 offset:1536
	s_waitcnt lgkmcnt(0)
	s_barrier
	buffer_gl0_inv
	v_lshrrev_b32_e32 v29, 16, v16
	v_lshrrev_b32_e32 v30, 16, v17
	v_lshrrev_b32_e32 v33, 16, v21
	v_lshrrev_b32_e32 v34, 16, v27
	v_mul_f16_sdwa v35, v0, v16 dst_sel:DWORD dst_unused:UNUSED_PAD src0_sel:WORD_1 src1_sel:DWORD
	v_mul_f16_sdwa v40, v0, v29 dst_sel:DWORD dst_unused:UNUSED_PAD src0_sel:WORD_1 src1_sel:DWORD
	v_lshrrev_b32_e32 v31, 16, v18
	v_lshrrev_b32_e32 v32, 16, v20
	v_mul_f16_sdwa v36, v1, v17 dst_sel:DWORD dst_unused:UNUSED_PAD src0_sel:WORD_1 src1_sel:DWORD
	v_mul_f16_sdwa v37, v2, v18 dst_sel:DWORD dst_unused:UNUSED_PAD src0_sel:WORD_1 src1_sel:DWORD
	v_mul_f16_sdwa v39, v13, v27 dst_sel:DWORD dst_unused:UNUSED_PAD src0_sel:WORD_1 src1_sel:DWORD
	v_fma_f16 v29, v0, v29, -v35
	v_mul_f16_sdwa v35, v1, v30 dst_sel:DWORD dst_unused:UNUSED_PAD src0_sel:WORD_1 src1_sel:DWORD
	v_mul_f16_sdwa v41, v12, v33 dst_sel:DWORD dst_unused:UNUSED_PAD src0_sel:WORD_1 src1_sel:DWORD
	;; [unrolled: 1-line block ×3, first 2 shown]
	v_fmac_f16_e32 v40, v0, v16
	v_mul_f16_sdwa v0, v12, v21 dst_sel:DWORD dst_unused:UNUSED_PAD src0_sel:WORD_1 src1_sel:DWORD
	v_mul_f16_sdwa v38, v3, v20 dst_sel:DWORD dst_unused:UNUSED_PAD src0_sel:WORD_1 src1_sel:DWORD
	v_fma_f16 v30, v1, v30, -v36
	v_mul_f16_sdwa v36, v2, v31 dst_sel:DWORD dst_unused:UNUSED_PAD src0_sel:WORD_1 src1_sel:DWORD
	v_fma_f16 v31, v2, v31, -v37
	v_mul_f16_sdwa v37, v3, v32 dst_sel:DWORD dst_unused:UNUSED_PAD src0_sel:WORD_1 src1_sel:DWORD
	v_fmac_f16_e32 v35, v1, v17
	v_fmac_f16_e32 v42, v13, v27
	v_fma_f16 v1, v13, v34, -v39
	v_fmac_f16_e32 v41, v12, v21
	v_fma_f16 v0, v12, v33, -v0
	v_fmac_f16_e32 v36, v2, v18
	v_fmac_f16_e32 v37, v3, v20
	v_fma_f16 v2, v3, v32, -v38
	v_add_f16_e32 v3, v40, v42
	v_add_f16_e32 v12, v29, v1
	;; [unrolled: 1-line block ×4, first 2 shown]
	v_sub_f16_e32 v1, v29, v1
	v_sub_f16_e32 v18, v35, v41
	;; [unrolled: 1-line block ×3, first 2 shown]
	v_add_f16_e32 v20, v36, v37
	v_add_f16_e32 v21, v31, v2
	v_sub_f16_e32 v27, v37, v36
	v_sub_f16_e32 v2, v2, v31
	v_add_f16_e32 v29, v16, v3
	v_add_f16_e32 v30, v17, v12
	v_sub_f16_e32 v13, v40, v42
	v_sub_f16_e32 v31, v16, v3
	;; [unrolled: 1-line block ×7, first 2 shown]
	v_add_f16_e32 v12, v27, v18
	v_add_f16_e32 v34, v2, v0
	v_sub_f16_e32 v35, v27, v18
	v_sub_f16_e32 v36, v2, v0
	v_add_f16_e32 v20, v20, v29
	v_add_f16_e32 v21, v21, v30
	v_sub_f16_e32 v18, v18, v13
	v_sub_f16_e32 v29, v0, v1
	;; [unrolled: 1-line block ×4, first 2 shown]
	v_add_f16_e32 v13, v12, v13
	v_add_f16_e32 v1, v34, v1
	;; [unrolled: 1-line block ×3, first 2 shown]
	v_add_f16_sdwa v12, v15, v21 dst_sel:DWORD dst_unused:UNUSED_PAD src0_sel:WORD_1 src1_sel:DWORD
	v_mul_f16_e32 v3, 0x3a52, v3
	v_mul_f16_e32 v15, 0x3a52, v33
	;; [unrolled: 1-line block ×8, first 2 shown]
	v_fmamk_f16 v20, v20, 0xbcab, v0
	v_fmamk_f16 v21, v21, 0xbcab, v12
	;; [unrolled: 1-line block ×4, first 2 shown]
	v_fma_f16 v30, v31, 0x39e0, -v30
	v_fma_f16 v33, v32, 0x39e0, -v33
	;; [unrolled: 1-line block ×4, first 2 shown]
	v_fmamk_f16 v31, v27, 0xb574, v34
	v_fmamk_f16 v32, v2, 0xb574, v35
	v_fma_f16 v34, v18, 0xbb00, -v34
	v_fma_f16 v29, v29, 0xbb00, -v35
	v_fma_f16 v35, v27, 0x3574, -v36
	v_fma_f16 v36, v2, 0x3574, -v37
	v_add_f16_e32 v37, v16, v20
	v_add_f16_e32 v38, v17, v21
	v_fmac_f16_e32 v31, 0xb70e, v13
	v_fmac_f16_e32 v32, 0xb70e, v1
	v_add_f16_e32 v16, v30, v20
	v_add_f16_e32 v17, v33, v21
	;; [unrolled: 1-line block ×4, first 2 shown]
	v_fmac_f16_e32 v34, 0xb70e, v13
	v_fmac_f16_e32 v36, 0xb70e, v1
	;; [unrolled: 1-line block ×4, first 2 shown]
	v_add_f16_e32 v1, v32, v37
	v_sub_f16_e32 v21, v38, v31
	v_add_f16_e32 v2, v36, v20
	v_sub_f16_e32 v18, v30, v35
	v_sub_f16_e32 v3, v16, v29
	v_add_f16_e32 v27, v34, v17
	v_add_f16_e32 v15, v29, v16
	v_sub_f16_e32 v17, v17, v34
	v_sub_f16_e32 v16, v20, v36
	v_add_f16_e32 v29, v35, v30
	v_sub_f16_e32 v13, v37, v32
	v_add_f16_e32 v20, v31, v38
	v_pack_b32_f16 v30, v0, v12
	v_pack_b32_f16 v31, v1, v21
	;; [unrolled: 1-line block ×7, first 2 shown]
	ds_write2_b32 v28, v30, v31 offset1:8
	ds_write2_b32 v28, v32, v33 offset0:16 offset1:24
	ds_write2_b32 v28, v34, v35 offset0:32 offset1:40
	ds_write_b32 v28, v36 offset:192
	s_waitcnt lgkmcnt(0)
	s_barrier
	buffer_gl0_inv
	s_and_saveexec_b32 s0, vcc_lo
	s_cbranch_execz .LBB0_19
; %bb.18:
	v_add_nc_u32_e32 v12, 0x200, v25
	v_add_nc_u32_e32 v13, 0x400, v25
	ds_read2_b32 v[0:1], v25 offset1:56
	ds_read2_b32 v[2:3], v25 offset0:112 offset1:168
	ds_read2_b32 v[15:16], v12 offset0:96 offset1:152
	;; [unrolled: 1-line block ×3, first 2 shown]
	s_waitcnt lgkmcnt(3)
	v_lshrrev_b32_e32 v12, 16, v0
	v_lshrrev_b32_e32 v21, 16, v1
	s_waitcnt lgkmcnt(2)
	v_lshrrev_b32_e32 v18, 16, v2
	v_lshrrev_b32_e32 v27, 16, v3
	;; [unrolled: 3-line block ×4, first 2 shown]
.LBB0_19:
	s_or_b32 exec_lo, exec_lo, s0
	s_and_saveexec_b32 s0, vcc_lo
	s_cbranch_execz .LBB0_21
; %bb.20:
	v_mul_f16_sdwa v32, v4, v1 dst_sel:DWORD dst_unused:UNUSED_PAD src0_sel:WORD_1 src1_sel:DWORD
	v_mul_f16_sdwa v33, v8, v16 dst_sel:DWORD dst_unused:UNUSED_PAD src0_sel:WORD_1 src1_sel:DWORD
	;; [unrolled: 1-line block ×5, first 2 shown]
	v_fma_f16 v32, v4, v21, -v32
	v_fma_f16 v33, v8, v29, -v33
	v_mul_f16_sdwa v21, v4, v21 dst_sel:DWORD dst_unused:UNUSED_PAD src0_sel:WORD_1 src1_sel:DWORD
	v_mul_f16_sdwa v29, v8, v29 dst_sel:DWORD dst_unused:UNUSED_PAD src0_sel:WORD_1 src1_sel:DWORD
	;; [unrolled: 1-line block ×4, first 2 shown]
	v_fmac_f16_e32 v34, v6, v3
	v_fmac_f16_e32 v21, v4, v1
	;; [unrolled: 1-line block ×3, first 2 shown]
	v_mul_f16_sdwa v1, v7, v15 dst_sel:DWORD dst_unused:UNUSED_PAD src0_sel:WORD_1 src1_sel:DWORD
	v_mul_f16_sdwa v4, v5, v18 dst_sel:DWORD dst_unused:UNUSED_PAD src0_sel:WORD_1 src1_sel:DWORD
	;; [unrolled: 1-line block ×5, first 2 shown]
	v_fmac_f16_e32 v35, v10, v14
	v_fma_f16 v1, v7, v17, -v1
	v_fmac_f16_e32 v4, v5, v2
	v_fmac_f16_e32 v8, v9, v13
	v_fma_f16 v28, v5, v18, -v28
	v_fma_f16 v30, v9, v20, -v30
	v_fmac_f16_e32 v31, v7, v15
	v_fma_f16 v3, v6, v27, -v3
	v_fma_f16 v6, v10, v19, -v37
	v_sub_f16_e32 v2, v32, v33
	v_sub_f16_e32 v5, v34, v35
	;; [unrolled: 1-line block ×10, first 2 shown]
	v_add_f16_e32 v36, v30, v31
	v_fma_f16 v0, v0, 2.0, -v31
	v_add_f16_e32 v7, v6, v10
	v_fma_f16 v4, v4, 2.0, -v8
	v_fma_f16 v8, v32, 2.0, -v2
	;; [unrolled: 1-line block ×7, first 2 shown]
	v_fmamk_f16 v6, v9, 0x39a8, v14
	v_fmamk_f16 v13, v7, 0x39a8, v36
	v_sub_f16_e32 v4, v0, v4
	v_sub_f16_e32 v3, v8, v3
	;; [unrolled: 1-line block ×4, first 2 shown]
	v_fmac_f16_e32 v6, 0xb9a8, v7
	v_fma_f16 v19, v31, 2.0, -v36
	v_fma_f16 v2, v2, 2.0, -v9
	;; [unrolled: 1-line block ×4, first 2 shown]
	v_fmac_f16_e32 v13, 0x39a8, v9
	v_add_f16_e32 v18, v4, v3
	v_fma_f16 v0, v0, 2.0, -v4
	v_fma_f16 v9, v16, 2.0, -v5
	;; [unrolled: 1-line block ×4, first 2 shown]
	v_fmamk_f16 v8, v7, 0xb9a8, v19
	v_fmamk_f16 v12, v2, 0xb9a8, v1
	v_sub_f16_e32 v9, v0, v9
	v_fma_f16 v4, v4, 2.0, -v18
	v_sub_f16_e32 v3, v10, v3
	v_fmac_f16_e32 v8, 0x39a8, v2
	v_fmac_f16_e32 v12, 0xb9a8, v7
	v_sub_f16_e32 v2, v15, v5
	v_fma_f16 v0, v0, 2.0, -v9
	v_fma_f16 v5, v10, 2.0, -v3
	;; [unrolled: 1-line block ×7, first 2 shown]
	v_pack_b32_f16 v0, v0, v5
	v_lshl_add_u32 v5, v23, 2, v26
	v_pack_b32_f16 v1, v7, v1
	v_pack_b32_f16 v4, v4, v10
	;; [unrolled: 1-line block ×6, first 2 shown]
	v_add_nc_u32_e32 v9, 0x400, v5
	v_pack_b32_f16 v6, v13, v6
	ds_write_b32 v25, v0
	ds_write2_b32 v5, v1, v4 offset0:56 offset1:112
	ds_write2_b32 v5, v7, v3 offset0:168 offset1:224
	;; [unrolled: 1-line block ×3, first 2 shown]
	ds_write_b32 v5, v6 offset:1568
.LBB0_21:
	s_or_b32 exec_lo, exec_lo, s0
	s_waitcnt lgkmcnt(0)
	s_barrier
	buffer_gl0_inv
	s_and_b32 exec_lo, exec_lo, vcc_lo
	s_cbranch_execz .LBB0_23
; %bb.22:
	s_clause 0x6
	global_load_dword v0, v22, s[10:11]
	global_load_dword v4, v22, s[10:11] offset:224
	global_load_dword v18, v22, s[10:11] offset:448
	global_load_dword v19, v22, s[10:11] offset:672
	global_load_dword v20, v22, s[10:11] offset:896
	global_load_dword v21, v22, s[10:11] offset:1120
	global_load_dword v3, v22, s[10:11] offset:1344
	v_mad_u64_u32 v[7:8], null, s6, v11, 0
	v_mad_u64_u32 v[9:10], null, s4, v23, 0
	v_lshl_add_u32 v24, v24, 2, v22
	ds_read_b32 v25, v25
	ds_read2_b32 v[12:13], v24 offset0:56 offset1:112
	v_mov_b32_e32 v5, v8
	v_mov_b32_e32 v6, v10
	v_add_nc_u32_e32 v1, 0x400, v24
	ds_read2_b32 v[14:15], v24 offset0:168 offset1:224
	s_mov_b32 s18, 0x92492492
	s_mov_b32 s19, 0x3f624924
	v_mad_u64_u32 v[10:11], null, s7, v11, v[5:6]
	v_mad_u64_u32 v[16:17], null, s5, v23, v[6:7]
	ds_read2_b32 v[1:2], v1 offset0:24 offset1:80
	global_load_dword v5, v22, s[10:11] offset:1568
	ds_read_b32 v6, v24 offset:1568
	s_mul_i32 s0, s5, 0xe0
	v_mov_b32_e32 v8, v10
	s_mul_hi_u32 s20, s4, 0xe0
	v_mov_b32_e32 v10, v16
	s_mul_i32 s17, s4, 0xe0
	s_waitcnt lgkmcnt(4)
	v_lshrrev_b32_e32 v11, 16, v25
	v_lshlrev_b64 v[7:8], 2, v[7:8]
	s_waitcnt lgkmcnt(3)
	v_lshrrev_b32_e32 v16, 16, v12
	v_lshlrev_b64 v[9:10], 2, v[9:10]
	v_lshrrev_b32_e32 v17, 16, v13
	s_waitcnt lgkmcnt(2)
	v_lshrrev_b32_e32 v22, 16, v14
	v_lshrrev_b32_e32 v23, 16, v15
	v_add_co_u32 v7, vcc_lo, s8, v7
	v_add_co_ci_u32_e32 v8, vcc_lo, s9, v8, vcc_lo
	s_add_i32 s20, s20, s0
	v_add_co_u32 v7, vcc_lo, v7, v9
	s_waitcnt lgkmcnt(1)
	v_lshrrev_b32_e32 v24, 16, v1
	v_add_co_ci_u32_e32 v8, vcc_lo, v8, v10, vcc_lo
	v_lshrrev_b32_e32 v37, 16, v2
	s_waitcnt vmcnt(7)
	v_mul_f16_sdwa v9, v11, v0 dst_sel:DWORD dst_unused:UNUSED_PAD src0_sel:DWORD src1_sel:WORD_1
	v_mul_f16_sdwa v10, v25, v0 dst_sel:DWORD dst_unused:UNUSED_PAD src0_sel:DWORD src1_sel:WORD_1
	s_waitcnt vmcnt(6)
	v_mul_f16_sdwa v26, v16, v4 dst_sel:DWORD dst_unused:UNUSED_PAD src0_sel:DWORD src1_sel:WORD_1
	s_waitcnt vmcnt(5)
	;; [unrolled: 2-line block ×3, first 2 shown]
	v_mul_f16_sdwa v30, v22, v19 dst_sel:DWORD dst_unused:UNUSED_PAD src0_sel:DWORD src1_sel:WORD_1
	v_fmac_f16_e32 v9, v25, v0
	s_waitcnt vmcnt(2)
	v_mul_f16_sdwa v34, v24, v21 dst_sel:DWORD dst_unused:UNUSED_PAD src0_sel:DWORD src1_sel:WORD_1
	v_fma_f16 v0, v0, v11, -v10
	v_mul_f16_sdwa v27, v12, v4 dst_sel:DWORD dst_unused:UNUSED_PAD src0_sel:DWORD src1_sel:WORD_1
	v_mul_f16_sdwa v31, v14, v19 dst_sel:DWORD dst_unused:UNUSED_PAD src0_sel:DWORD src1_sel:WORD_1
	v_cvt_f32_f16_e32 v9, v9
	v_mul_f16_sdwa v32, v23, v20 dst_sel:DWORD dst_unused:UNUSED_PAD src0_sel:DWORD src1_sel:WORD_1
	v_mul_f16_sdwa v33, v15, v20 dst_sel:DWORD dst_unused:UNUSED_PAD src0_sel:DWORD src1_sel:WORD_1
	;; [unrolled: 1-line block ×3, first 2 shown]
	v_fmac_f16_e32 v26, v12, v4
	v_fma_f16 v10, v18, v17, -v29
	v_fmac_f16_e32 v30, v14, v19
	v_fmac_f16_e32 v34, v1, v21
	v_cvt_f32_f16_e32 v14, v0
	v_cvt_f64_f32_e32 v[0:1], v9
	v_mul_f16_sdwa v28, v17, v18 dst_sel:DWORD dst_unused:UNUSED_PAD src0_sel:DWORD src1_sel:WORD_1
	v_fma_f16 v4, v4, v16, -v27
	v_fma_f16 v11, v19, v22, -v31
	v_fmac_f16_e32 v32, v15, v20
	v_fma_f16 v12, v20, v23, -v33
	v_cvt_f32_f16_e32 v15, v26
	v_cvt_f32_f16_e32 v17, v10
	v_cvt_f64_f32_e32 v[9:10], v14
	v_fmac_f16_e32 v28, v13, v18
	v_fma_f16 v13, v21, v24, -v35
	v_cvt_f32_f16_e32 v4, v4
	v_cvt_f32_f16_e32 v21, v11
	;; [unrolled: 1-line block ×3, first 2 shown]
	v_cvt_f64_f32_e32 v[11:12], v15
	v_cvt_f32_f16_e32 v16, v28
	v_cvt_f32_f16_e32 v29, v13
	v_cvt_f64_f32_e32 v[13:14], v4
	v_cvt_f32_f16_e32 v23, v32
	v_cvt_f32_f16_e32 v19, v30
	v_cvt_f64_f32_e32 v[15:16], v16
	v_cvt_f64_f32_e32 v[17:18], v17
	v_mul_f64 v[31:32], v[0:1], s[18:19]
	v_cvt_f64_f32_e32 v[21:22], v21
	v_cvt_f64_f32_e32 v[19:20], v19
	v_add_co_u32 v33, vcc_lo, v7, s17
	v_cvt_f32_f16_e32 v27, v34
	v_add_co_ci_u32_e32 v34, vcc_lo, s20, v8, vcc_lo
	v_mul_f64 v[9:10], v[9:10], s[18:19]
	v_cvt_f64_f32_e32 v[23:24], v23
	v_add_co_u32 v35, vcc_lo, v33, s17
	v_add_co_ci_u32_e32 v36, vcc_lo, s20, v34, vcc_lo
	v_mul_f64 v[11:12], v[11:12], s[18:19]
	v_cvt_f64_f32_e32 v[25:26], v25
	v_add_co_u32 v0, vcc_lo, v35, s17
	v_mul_f64 v[13:14], v[13:14], s[18:19]
	v_add_co_ci_u32_e32 v1, vcc_lo, s20, v36, vcc_lo
	v_mul_f64 v[15:16], v[15:16], s[18:19]
	v_and_or_b32 v31, 0x1ff, v32, v31
	v_mul_f64 v[17:18], v[17:18], s[18:19]
	v_cvt_f64_f32_e32 v[27:28], v27
	v_mul_f64 v[19:20], v[19:20], s[18:19]
	v_mul_f64 v[21:22], v[21:22], s[18:19]
	v_cmp_ne_u32_e32 vcc_lo, 0, v31
	v_lshrrev_b32_e32 v38, 8, v32
	v_bfe_u32 v39, v32, 20, 11
	v_and_or_b32 v9, 0x1ff, v10, v9
	v_mul_f64 v[23:24], v[23:24], s[18:19]
	v_cndmask_b32_e64 v31, 0, 1, vcc_lo
	v_lshrrev_b32_e32 v40, 8, v10
	v_bfe_u32 v41, v10, 20, 11
	v_cmp_ne_u32_e32 vcc_lo, 0, v9
	v_and_or_b32 v11, 0x1ff, v12, v11
	v_mul_f64 v[25:26], v[25:26], s[18:19]
	v_lshrrev_b32_e32 v42, 8, v12
	v_bfe_u32 v43, v12, 20, 11
	v_and_or_b32 v13, 0x1ff, v14, v13
	v_cndmask_b32_e64 v9, 0, 1, vcc_lo
	v_cmp_ne_u32_e32 vcc_lo, 0, v11
	v_and_or_b32 v15, 0x1ff, v16, v15
	v_lshrrev_b32_e32 v44, 8, v14
	v_and_or_b32 v17, 0x1ff, v18, v17
	v_mul_f64 v[27:28], v[27:28], s[18:19]
	v_cndmask_b32_e64 v11, 0, 1, vcc_lo
	v_cmp_ne_u32_e32 vcc_lo, 0, v13
	v_and_or_b32 v19, 0x1ff, v20, v19
	v_and_or_b32 v21, 0x1ff, v22, v21
	v_bfe_u32 v45, v14, 20, 11
	v_lshrrev_b32_e32 v46, 8, v16
	v_cndmask_b32_e64 v13, 0, 1, vcc_lo
	v_cmp_ne_u32_e32 vcc_lo, 0, v15
	v_and_or_b32 v23, 0x1ff, v24, v23
	v_bfe_u32 v47, v16, 20, 11
	v_bfe_u32 v49, v18, 20, 11
	v_bfe_u32 v51, v20, 20, 11
	v_cndmask_b32_e64 v15, 0, 1, vcc_lo
	v_cmp_ne_u32_e32 vcc_lo, 0, v17
	v_and_or_b32 v25, 0x1ff, v26, v25
	v_bfe_u32 v55, v24, 20, 11
	v_sub_nc_u32_e32 v62, 0x3f1, v43
	v_and_or_b32 v31, 0xffe, v38, v31
	v_cndmask_b32_e64 v17, 0, 1, vcc_lo
	v_cmp_ne_u32_e32 vcc_lo, 0, v19
	v_and_or_b32 v11, 0xffe, v42, v11
	v_and_or_b32 v27, 0x1ff, v28, v27
	v_lshrrev_b32_e32 v48, 8, v18
	v_lshrrev_b32_e32 v50, 8, v20
	v_cndmask_b32_e64 v19, 0, 1, vcc_lo
	v_cmp_ne_u32_e32 vcc_lo, 0, v21
	v_lshrrev_b32_e32 v54, 8, v24
	v_bfe_u32 v57, v26, 20, 11
	v_bfe_u32 v59, v28, 20, 11
	v_sub_nc_u32_e32 v60, 0x3f1, v39
	v_cndmask_b32_e64 v21, 0, 1, vcc_lo
	v_cmp_ne_u32_e32 vcc_lo, 0, v23
	v_add_nc_u32_e32 v39, 0xfffffc10, v39
	v_sub_nc_u32_e32 v61, 0x3f1, v41
	v_sub_nc_u32_e32 v63, 0x3f1, v45
	;; [unrolled: 1-line block ×3, first 2 shown]
	v_cndmask_b32_e64 v23, 0, 1, vcc_lo
	v_cmp_ne_u32_e32 vcc_lo, 0, v25
	v_sub_nc_u32_e32 v65, 0x3f1, v49
	v_sub_nc_u32_e32 v66, 0x3f1, v51
	;; [unrolled: 1-line block ×3, first 2 shown]
	v_and_or_b32 v9, 0xffe, v40, v9
	v_cndmask_b32_e64 v25, 0, 1, vcc_lo
	v_cmp_ne_u32_e32 vcc_lo, 0, v27
	v_med3_i32 v42, v62, 0, 13
	v_and_or_b32 v13, 0xffe, v44, v13
	v_and_or_b32 v15, 0xffe, v46, v15
	v_or_b32_e32 v62, 0x1000, v11
	v_cndmask_b32_e64 v27, 0, 1, vcc_lo
	v_cmp_ne_u32_e32 vcc_lo, 0, v31
	v_bfe_u32 v53, v22, 20, 11
	v_lshrrev_b32_e32 v56, 8, v26
	v_lshrrev_b32_e32 v58, 8, v28
	v_add_nc_u32_e32 v41, 0xfffffc10, v41
	v_sub_nc_u32_e32 v69, 0x3f1, v57
	v_sub_nc_u32_e32 v70, 0x3f1, v59
	v_med3_i32 v38, v60, 0, 13
	v_med3_i32 v40, v61, 0, 13
	;; [unrolled: 1-line block ×4, first 2 shown]
	v_and_or_b32 v17, 0xffe, v48, v17
	v_med3_i32 v48, v65, 0, 13
	v_and_or_b32 v19, 0xffe, v50, v19
	v_med3_i32 v50, v66, 0, 13
	;; [unrolled: 2-line block ×3, first 2 shown]
	v_or_b32_e32 v60, 0x1000, v31
	v_lshl_or_b32 v61, v39, 12, v31
	v_cndmask_b32_e64 v31, 0, 1, vcc_lo
	v_or_b32_e32 v65, 0x1000, v13
	v_lshrrev_b32_e32 v66, v42, v62
	v_cmp_ne_u32_e32 vcc_lo, 0, v9
	v_or_b32_e32 v68, 0x1000, v15
	v_lshrrev_b32_e32 v52, 8, v22
	v_add_nc_u32_e32 v43, 0xfffffc10, v43
	v_sub_nc_u32_e32 v67, 0x3f1, v53
	v_and_or_b32 v25, 0xffe, v56, v25
	v_med3_i32 v56, v69, 0, 13
	v_and_or_b32 v27, 0xffe, v58, v27
	v_med3_i32 v58, v70, 0, 13
	v_or_b32_e32 v63, 0x1000, v9
	v_lshl_or_b32 v64, v41, 12, v9
	v_cndmask_b32_e64 v9, 0, 1, vcc_lo
	v_lshrrev_b32_e32 v69, v44, v65
	v_lshlrev_b32_e32 v42, v42, v66
	v_cmp_ne_u32_e32 vcc_lo, 0, v11
	v_lshrrev_b32_e32 v70, v46, v68
	v_or_b32_e32 v71, 0x1000, v17
	v_and_or_b32 v21, 0xffe, v52, v21
	v_med3_i32 v52, v67, 0, 13
	v_lshl_or_b32 v67, v43, 12, v11
	v_cndmask_b32_e64 v11, 0, 1, vcc_lo
	v_lshlrev_b32_e32 v44, v44, v69
	v_cmp_ne_u32_e32 vcc_lo, v42, v62
	v_or_b32_e32 v42, 0x1000, v19
	v_lshlrev_b32_e32 v46, v46, v70
	v_lshrrev_b32_e32 v62, v48, v71
	v_add_nc_u32_e32 v45, 0xfffffc10, v45
	v_cmp_ne_u32_e64 s0, v44, v65
	v_or_b32_e32 v44, 0x1000, v21
	v_cmp_ne_u32_e64 s1, v46, v68
	v_lshrrev_b32_e32 v46, v50, v42
	v_lshlrev_b32_e32 v48, v48, v62
	v_cmp_ne_u32_e64 s2, 0, v13
	v_lshl_or_b32 v65, v45, 12, v13
	v_lshrrev_b32_e32 v68, v52, v44
	v_lshlrev_b32_e32 v50, v50, v46
	v_add_nc_u32_e32 v47, 0xfffffc10, v47
	v_cndmask_b32_e64 v13, 0, 1, s2
	v_cmp_ne_u32_e64 s2, v48, v71
	v_or_b32_e32 v48, 0x1000, v23
	v_lshlrev_b32_e32 v52, v52, v68
	v_or_b32_e32 v71, 0x1000, v25
	v_cmp_ne_u32_e64 s3, v50, v42
	v_cmp_ne_u32_e64 s5, 0, v15
	v_lshrrev_b32_e32 v50, v54, v48
	v_add_nc_u32_e32 v49, 0xfffffc10, v49
	v_lshl_or_b32 v42, v47, 12, v15
	v_cmp_ne_u32_e64 s4, v52, v44
	v_lshrrev_b32_e32 v44, v56, v71
	v_cndmask_b32_e64 v15, 0, 1, s5
	v_lshlrev_b32_e32 v52, v54, v50
	v_cmp_ne_u32_e64 s5, 0, v17
	v_add_nc_u32_e32 v51, 0xfffffc10, v51
	v_lshl_or_b32 v54, v49, 12, v17
	v_lshlrev_b32_e32 v56, v56, v44
	v_cmp_ne_u32_e64 s7, 0, v19
	v_cndmask_b32_e64 v17, 0, 1, s5
	v_cmp_ne_u32_e64 s5, v52, v48
	v_lshrrev_b32_e32 v52, v38, v60
	v_add_nc_u32_e32 v53, 0xfffffc10, v53
	v_lshl_or_b32 v48, v51, 12, v19
	v_cmp_ne_u32_e64 s6, v56, v71
	v_lshrrev_b32_e32 v56, v40, v63
	v_cndmask_b32_e64 v19, 0, 1, s7
	v_lshlrev_b32_e32 v38, v38, v52
	v_cmp_ne_u32_e64 s7, 0, v21
	v_lshl_or_b32 v71, v53, 12, v21
	v_lshlrev_b32_e32 v40, v40, v56
	v_add_nc_u32_e32 v55, 0xfffffc10, v55
	v_add_nc_u32_e32 v57, 0xfffffc10, v57
	v_cndmask_b32_e64 v21, 0, 1, s7
	v_cmp_ne_u32_e64 s7, v38, v60
	v_lshl_or_b32 v31, v31, 9, 0x7c00
	v_lshl_or_b32 v38, v55, 12, v23
	;; [unrolled: 1-line block ×4, first 2 shown]
	v_cndmask_b32_e64 v60, 0, 1, s7
	v_cmp_ne_u32_e64 s7, v40, v63
	v_cndmask_b32_e64 v63, 0, 1, vcc_lo
	v_cmp_gt_i32_e32 vcc_lo, 1, v39
	v_lshl_or_b32 v13, v13, 9, 0x7c00
	v_or_b32_e32 v52, v52, v60
	v_cndmask_b32_e64 v40, 0, 1, s7
	v_cndmask_b32_e64 v60, 0, 1, s0
	v_or_b32_e32 v63, v66, v63
	v_cndmask_b32_e64 v66, 0, 1, s2
	v_cndmask_b32_e32 v52, v61, v52, vcc_lo
	v_or_b32_e32 v40, v56, v40
	v_cmp_gt_i32_e32 vcc_lo, 1, v41
	v_cndmask_b32_e64 v56, 0, 1, s1
	v_or_b32_e32 v60, v69, v60
	v_cndmask_b32_e64 v69, 0, 1, s3
	v_or_b32_e32 v62, v62, v66
	v_cndmask_b32_e32 v40, v64, v40, vcc_lo
	v_cmp_gt_i32_e32 vcc_lo, 1, v43
	v_or_b32_e32 v56, v70, v56
	v_cndmask_b32_e64 v70, 0, 1, s4
	v_or_b32_e32 v46, v46, v69
	v_lshl_or_b32 v66, v57, 12, v25
	v_cndmask_b32_e32 v61, v67, v63, vcc_lo
	v_cmp_gt_i32_e32 vcc_lo, 1, v45
	v_or_b32_e32 v68, v68, v70
	v_cndmask_b32_e64 v70, 0, 1, s5
	v_cmp_ne_u32_e64 s7, 0, v23
	v_lshl_or_b32 v15, v15, 9, 0x7c00
	v_cndmask_b32_e32 v60, v65, v60, vcc_lo
	v_cmp_gt_i32_e32 vcc_lo, 1, v47
	v_or_b32_e32 v50, v50, v70
	v_cndmask_b32_e64 v70, 0, 1, s6
	v_cndmask_b32_e64 v23, 0, 1, s7
	v_and_b32_e32 v63, 7, v60
	v_cndmask_b32_e32 v42, v42, v56, vcc_lo
	v_cmp_gt_i32_e32 vcc_lo, 1, v49
	v_or_b32_e32 v44, v44, v70
	v_and_b32_e32 v56, 7, v40
	v_lshrrev_b32_e32 v40, 2, v40
	v_and_b32_e32 v64, 7, v42
	v_cndmask_b32_e32 v54, v54, v62, vcc_lo
	v_cmp_gt_i32_e32 vcc_lo, 1, v51
	v_and_b32_e32 v62, 7, v61
	v_cmp_lt_i32_e64 s1, 5, v56
	v_cmp_eq_u32_e64 s2, 3, v56
	v_lshrrev_b32_e32 v61, 2, v61
	v_cndmask_b32_e32 v46, v48, v46, vcc_lo
	v_cmp_gt_i32_e32 vcc_lo, 1, v53
	v_cmp_lt_i32_e64 s3, 5, v62
	v_cmp_eq_u32_e64 s4, 3, v62
	v_cmp_lt_i32_e64 s5, 5, v63
	v_cmp_eq_u32_e64 s6, 3, v63
	v_cndmask_b32_e32 v48, v71, v68, vcc_lo
	v_cmp_gt_i32_e32 vcc_lo, 1, v55
	v_and_b32_e32 v65, 7, v54
	v_lshrrev_b32_e32 v60, 2, v60
	v_cmp_lt_i32_e64 s7, 5, v64
	v_cmp_eq_u32_e64 s8, 3, v64
	v_cndmask_b32_e32 v38, v38, v50, vcc_lo
	v_cmp_gt_i32_e32 vcc_lo, 1, v57
	v_and_b32_e32 v50, 7, v52
	v_lshrrev_b32_e32 v52, 2, v52
	v_lshrrev_b32_e32 v42, 2, v42
	v_cmp_lt_i32_e64 s9, 5, v65
	v_cndmask_b32_e32 v44, v66, v44, vcc_lo
	v_cmp_lt_i32_e32 vcc_lo, 5, v50
	v_cmp_eq_u32_e64 s0, 3, v50
	v_and_b32_e32 v66, 7, v46
	v_cmp_eq_u32_e64 s10, 3, v65
	v_and_b32_e32 v67, 7, v48
	v_lshrrev_b32_e32 v54, 2, v54
	s_or_b32 vcc_lo, s0, vcc_lo
	v_cmp_lt_i32_e64 s11, 5, v66
	v_add_co_ci_u32_e32 v50, vcc_lo, 0, v52, vcc_lo
	s_or_b32 vcc_lo, s2, s1
	v_cmp_eq_u32_e64 s12, 3, v66
	v_add_co_ci_u32_e32 v40, vcc_lo, 0, v40, vcc_lo
	s_or_b32 vcc_lo, s4, s3
	v_and_b32_e32 v68, 7, v38
	v_add_co_ci_u32_e32 v52, vcc_lo, 0, v61, vcc_lo
	s_or_b32 vcc_lo, s6, s5
	v_lshrrev_b32_e32 v46, 2, v46
	v_add_co_ci_u32_e32 v56, vcc_lo, 0, v60, vcc_lo
	s_or_b32 vcc_lo, s8, s7
	v_cmp_lt_i32_e64 s13, 5, v67
	v_add_co_ci_u32_e32 v42, vcc_lo, 0, v42, vcc_lo
	s_or_b32 vcc_lo, s10, s9
	v_cmp_eq_u32_e64 s14, 3, v67
	v_add_co_ci_u32_e32 v54, vcc_lo, 0, v54, vcc_lo
	v_lshrrev_b32_e32 v48, 2, v48
	s_or_b32 vcc_lo, s12, s11
	v_cmp_lt_i32_e64 s15, 5, v68
	v_cmp_eq_u32_e64 s16, 3, v68
	v_add_co_ci_u32_e32 v46, vcc_lo, 0, v46, vcc_lo
	v_lshrrev_b32_e32 v38, 2, v38
	s_or_b32 vcc_lo, s14, s13
	v_lshl_or_b32 v17, v17, 9, 0x7c00
	v_add_co_ci_u32_e32 v48, vcc_lo, 0, v48, vcc_lo
	s_or_b32 vcc_lo, s16, s15
	v_lshrrev_b32_e32 v32, 16, v32
	v_add_co_ci_u32_e32 v38, vcc_lo, 0, v38, vcc_lo
	v_cmp_gt_i32_e32 vcc_lo, 31, v39
	v_lshrrev_b32_e32 v10, 16, v10
	v_lshrrev_b32_e32 v12, 16, v12
	;; [unrolled: 1-line block ×3, first 2 shown]
	v_lshl_or_b32 v19, v19, 9, 0x7c00
	v_cndmask_b32_e32 v50, 0x7c00, v50, vcc_lo
	v_cmp_gt_i32_e32 vcc_lo, 31, v41
	v_cvt_f64_f32_e32 v[29:30], v29
	v_lshrrev_b32_e32 v14, 16, v14
	v_lshrrev_b32_e32 v18, 16, v18
	v_lshl_or_b32 v21, v21, 9, 0x7c00
	v_cndmask_b32_e32 v40, 0x7c00, v40, vcc_lo
	v_cmp_gt_i32_e32 vcc_lo, 31, v43
	v_lshl_or_b32 v23, v23, 9, 0x7c00
	v_or_b32_e32 v69, 0x1000, v27
	v_and_b32_e32 v70, 7, v44
	s_waitcnt vmcnt(1)
	v_mul_f16_sdwa v4, v37, v3 dst_sel:DWORD dst_unused:UNUSED_PAD src0_sel:DWORD src1_sel:WORD_1
	v_cndmask_b32_e32 v52, 0x7c00, v52, vcc_lo
	v_cmp_gt_i32_e32 vcc_lo, 31, v45
	v_lshrrev_b32_e32 v20, 16, v20
	v_cmp_eq_u32_e64 s0, 3, v70
	v_lshrrev_b32_e32 v22, 16, v22
	v_fmac_f16_e32 v4, v2, v3
	v_cndmask_b32_e32 v56, 0x7c00, v56, vcc_lo
	v_cmp_gt_i32_e32 vcc_lo, 31, v47
	v_mul_f16_sdwa v2, v2, v3 dst_sel:DWORD dst_unused:UNUSED_PAD src0_sel:DWORD src1_sel:WORD_1
	v_cvt_f32_f16_e32 v4, v4
	v_cndmask_b32_e32 v42, 0x7c00, v42, vcc_lo
	v_cmp_gt_i32_e32 vcc_lo, 31, v49
	v_mul_f64 v[29:30], v[29:30], s[18:19]
	v_fma_f16 v2, v3, v37, -v2
	v_cndmask_b32_e32 v54, 0x7c00, v54, vcc_lo
	v_cmp_gt_i32_e32 vcc_lo, 31, v51
	v_cvt_f32_f16_e32 v2, v2
	v_cndmask_b32_e32 v46, 0x7c00, v46, vcc_lo
	v_cmp_gt_i32_e32 vcc_lo, 31, v53
	v_cvt_f64_f32_e32 v[2:3], v2
	v_cndmask_b32_e32 v48, 0x7c00, v48, vcc_lo
	v_cmp_eq_u32_e32 vcc_lo, 0x40f, v39
	v_cndmask_b32_e32 v31, v50, v31, vcc_lo
	v_cmp_eq_u32_e32 vcc_lo, 0x40f, v41
	v_and_or_b32 v31, 0x8000, v32, v31
	v_cndmask_b32_e32 v9, v40, v9, vcc_lo
	v_cmp_eq_u32_e32 vcc_lo, 0x40f, v43
	v_and_or_b32 v9, 0x8000, v10, v9
	v_cndmask_b32_e32 v11, v52, v11, vcc_lo
	v_cmp_eq_u32_e32 vcc_lo, 0x40f, v45
	v_mul_f64 v[2:3], v[2:3], s[18:19]
	v_and_or_b32 v10, 0x8000, v12, v11
	v_cndmask_b32_e32 v13, v56, v13, vcc_lo
	v_cmp_eq_u32_e32 vcc_lo, 0x40f, v47
	v_and_b32_e32 v10, 0xffff, v10
	v_and_or_b32 v11, 0x8000, v14, v13
	v_cndmask_b32_e32 v15, v42, v15, vcc_lo
	v_cmp_eq_u32_e32 vcc_lo, 0x40f, v49
	v_lshl_or_b32 v10, v11, 16, v10
	v_and_or_b32 v12, 0x8000, v16, v15
	v_cndmask_b32_e32 v17, v54, v17, vcc_lo
	v_cmp_eq_u32_e32 vcc_lo, 0x40f, v51
	v_and_b32_e32 v15, 0xffff, v31
	v_and_b32_e32 v12, 0xffff, v12
	v_and_or_b32 v13, 0x8000, v18, v17
	v_cndmask_b32_e32 v19, v46, v19, vcc_lo
	v_cmp_eq_u32_e32 vcc_lo, 0x40f, v53
	v_lshl_or_b32 v9, v9, 16, v15
	v_and_or_b32 v15, 0x1ff, v30, v29
	v_lshl_or_b32 v11, v13, 16, v12
	global_store_dword v[7:8], v9, off
	global_store_dword v[33:34], v10, off
	;; [unrolled: 1-line block ×3, first 2 shown]
	v_cndmask_b32_e32 v21, v48, v21, vcc_lo
	v_cmp_gt_i32_e32 vcc_lo, 31, v55
	v_lshrrev_b32_e32 v8, 16, v24
	v_lshrrev_b32_e32 v9, v58, v69
	v_and_or_b32 v14, 0x8000, v20, v19
	v_and_or_b32 v16, 0x8000, v22, v21
	v_cndmask_b32_e32 v12, 0x7c00, v38, vcc_lo
	v_cmp_eq_u32_e32 vcc_lo, 0x40f, v55
	v_and_or_b32 v2, 0x1ff, v3, v2
	v_and_b32_e32 v14, 0xffff, v14
	v_cndmask_b32_e32 v7, v12, v23, vcc_lo
	v_cmp_lt_i32_e32 vcc_lo, 5, v70
	v_lshl_or_b32 v13, v16, 16, v14
	v_add_nc_u32_e32 v14, 0xfffffc10, v59
	v_bfe_u32 v16, v30, 20, 11
	v_and_or_b32 v10, 0x8000, v8, v7
	v_lshrrev_b32_e32 v7, 2, v44
	v_lshlrev_b32_e32 v8, v58, v9
	s_or_b32 vcc_lo, s0, vcc_lo
	v_and_b32_e32 v10, 0xffff, v10
	v_add_co_ci_u32_e32 v11, vcc_lo, 0, v7, vcc_lo
	v_cmp_ne_u32_e32 vcc_lo, v8, v69
	v_cvt_f64_f32_e32 v[7:8], v4
	v_cndmask_b32_e64 v12, 0, 1, vcc_lo
	v_cmp_ne_u32_e32 vcc_lo, 0, v25
	v_or_b32_e32 v9, v9, v12
	v_cndmask_b32_e64 v4, 0, 1, vcc_lo
	v_cmp_gt_i32_e32 vcc_lo, 31, v57
	v_lshl_or_b32 v12, v14, 12, v27
	v_lshl_or_b32 v4, v4, 9, 0x7c00
	v_cndmask_b32_e32 v11, 0x7c00, v11, vcc_lo
	v_cmp_gt_i32_e32 vcc_lo, 1, v14
	v_cndmask_b32_e32 v9, v12, v9, vcc_lo
	v_cmp_ne_u32_e32 vcc_lo, 0, v15
	v_lshrrev_b32_e32 v15, 8, v30
	v_mul_f64 v[7:8], v[7:8], s[18:19]
	v_and_b32_e32 v17, 7, v9
	v_cndmask_b32_e64 v12, 0, 1, vcc_lo
	v_cmp_eq_u32_e32 vcc_lo, 0x40f, v57
	v_lshrrev_b32_e32 v9, 2, v9
	v_cmp_eq_u32_e64 s0, 3, v17
	v_and_or_b32 v15, 0xffe, v15, v12
	v_cndmask_b32_e32 v4, v11, v4, vcc_lo
	v_sub_nc_u32_e32 v11, 0x3f1, v16
	v_cmp_lt_i32_e32 vcc_lo, 5, v17
	v_lshrrev_b32_e32 v12, 16, v26
	v_or_b32_e32 v18, 0x1000, v15
	v_add_nc_u32_e32 v16, 0xfffffc10, v16
	v_med3_i32 v11, v11, 0, 13
	s_or_b32 vcc_lo, s0, vcc_lo
	v_and_or_b32 v4, 0x8000, v12, v4
	v_add_co_ci_u32_e32 v9, vcc_lo, 0, v9, vcc_lo
	v_lshrrev_b32_e32 v12, v11, v18
	v_cmp_ne_u32_e32 vcc_lo, 0, v27
	v_lshl_or_b32 v19, v4, 16, v10
	v_and_or_b32 v7, 0x1ff, v8, v7
	v_lshlrev_b32_e32 v4, v11, v12
	v_cndmask_b32_e64 v17, 0, 1, vcc_lo
	v_cmp_gt_i32_e32 vcc_lo, 31, v14
	v_lshl_or_b32 v10, v17, 9, 0x7c00
	v_cndmask_b32_e32 v9, 0x7c00, v9, vcc_lo
	v_cmp_ne_u32_e32 vcc_lo, v4, v18
	s_waitcnt lgkmcnt(0)
	v_lshrrev_b32_e32 v18, 16, v6
	v_cndmask_b32_e64 v4, 0, 1, vcc_lo
	v_cmp_eq_u32_e32 vcc_lo, 0x40f, v14
	v_bfe_u32 v14, v8, 20, 11
	s_waitcnt vmcnt(0)
	v_mul_f16_sdwa v22, v18, v5 dst_sel:DWORD dst_unused:UNUSED_PAD src0_sel:DWORD src1_sel:WORD_1
	v_or_b32_e32 v4, v12, v4
	v_cndmask_b32_e32 v11, v9, v10, vcc_lo
	v_cmp_ne_u32_e32 vcc_lo, 0, v7
	v_lshrrev_b32_e32 v10, 8, v8
	v_lshl_or_b32 v9, v16, 12, v15
	v_lshrrev_b32_e32 v12, 16, v28
	v_fmac_f16_e32 v22, v6, v5
	v_cndmask_b32_e64 v7, 0, 1, vcc_lo
	v_cmp_gt_i32_e32 vcc_lo, 1, v16
	v_mul_f16_sdwa v6, v6, v5 dst_sel:DWORD dst_unused:UNUSED_PAD src0_sel:DWORD src1_sel:WORD_1
	v_and_or_b32 v23, 0x8000, v12, v11
	v_cvt_f32_f16_e32 v11, v22
	v_and_or_b32 v17, 0xffe, v10, v7
	v_sub_nc_u32_e32 v7, 0x3f1, v14
	v_cndmask_b32_e32 v4, v9, v4, vcc_lo
	v_add_co_u32 v9, vcc_lo, v0, s17
	v_or_b32_e32 v21, 0x1000, v17
	v_med3_i32 v7, v7, 0, 13
	v_and_b32_e32 v20, 7, v4
	v_add_co_ci_u32_e32 v10, vcc_lo, s20, v1, vcc_lo
	v_lshrrev_b32_e32 v4, 2, v4
	v_lshrrev_b32_e32 v24, v7, v21
	v_cmp_lt_i32_e32 vcc_lo, 5, v20
	v_cmp_eq_u32_e64 s0, 3, v20
	v_cvt_f64_f32_e32 v[11:12], v11
	v_add_nc_u32_e32 v14, 0xfffffc10, v14
	v_lshlrev_b32_e32 v7, v7, v24
	v_fma_f16 v5, v5, v18, -v6
	s_or_b32 vcc_lo, s0, vcc_lo
	v_lshrrev_b32_e32 v18, 16, v30
	v_add_co_ci_u32_e32 v4, vcc_lo, 0, v4, vcc_lo
	v_cmp_ne_u32_e32 vcc_lo, v7, v21
	v_lshl_or_b32 v20, v14, 12, v17
	v_cvt_f32_f16_e32 v5, v5
	v_lshrrev_b32_e32 v8, 16, v8
	v_cndmask_b32_e64 v7, 0, 1, vcc_lo
	v_cmp_ne_u32_e32 vcc_lo, 0, v15
	v_or_b32_e32 v7, v24, v7
	v_cndmask_b32_e64 v15, 0, 1, vcc_lo
	v_cmp_gt_i32_e32 vcc_lo, 31, v16
	v_lshl_or_b32 v6, v15, 9, 0x7c00
	v_cndmask_b32_e32 v4, 0x7c00, v4, vcc_lo
	v_cmp_gt_i32_e32 vcc_lo, 1, v14
	v_cndmask_b32_e32 v15, v20, v7, vcc_lo
	v_cmp_eq_u32_e32 vcc_lo, 0x40f, v16
	v_and_b32_e32 v20, 7, v15
	v_cndmask_b32_e32 v16, v4, v6, vcc_lo
	v_mul_f64 v[6:7], v[11:12], s[18:19]
	v_cvt_f64_f32_e32 v[4:5], v5
	v_cmp_ne_u32_e32 vcc_lo, 0, v2
	v_lshrrev_b32_e32 v11, 8, v3
	v_bfe_u32 v12, v3, 20, 11
	v_cmp_eq_u32_e64 s0, 3, v20
	v_lshrrev_b32_e32 v15, 2, v15
	v_cndmask_b32_e64 v2, 0, 1, vcc_lo
	v_cmp_lt_i32_e32 vcc_lo, 5, v20
	v_and_or_b32 v16, 0x8000, v18, v16
	v_and_b32_e32 v18, 0xffff, v23
	v_lshrrev_b32_e32 v3, 16, v3
	v_and_or_b32 v2, 0xffe, v11, v2
	v_sub_nc_u32_e32 v11, 0x3f1, v12
	s_or_b32 vcc_lo, s0, vcc_lo
	v_lshl_or_b32 v16, v16, 16, v18
	v_add_co_ci_u32_e32 v15, vcc_lo, 0, v15, vcc_lo
	v_or_b32_e32 v18, 0x1000, v2
	v_med3_i32 v11, v11, 0, 13
	v_cmp_ne_u32_e32 vcc_lo, 0, v17
	v_add_nc_u32_e32 v12, 0xfffffc10, v12
	v_and_or_b32 v6, 0x1ff, v7, v6
	v_mul_f64 v[4:5], v[4:5], s[18:19]
	v_lshrrev_b32_e32 v20, v11, v18
	v_cndmask_b32_e64 v17, 0, 1, vcc_lo
	v_cmp_gt_i32_e32 vcc_lo, 31, v14
	v_lshrrev_b32_e32 v21, 8, v7
	v_bfe_u32 v22, v7, 20, 11
	v_lshlrev_b32_e32 v11, v11, v20
	v_lshl_or_b32 v17, v17, 9, 0x7c00
	v_cndmask_b32_e32 v15, 0x7c00, v15, vcc_lo
	v_cmp_ne_u32_e32 vcc_lo, 0, v6
	v_lshrrev_b32_e32 v7, 16, v7
	v_cndmask_b32_e64 v6, 0, 1, vcc_lo
	v_cmp_ne_u32_e32 vcc_lo, v11, v18
	v_sub_nc_u32_e32 v18, 0x3f1, v22
	v_and_or_b32 v6, 0xffe, v21, v6
	v_cndmask_b32_e64 v11, 0, 1, vcc_lo
	v_cmp_eq_u32_e32 vcc_lo, 0x40f, v14
	v_med3_i32 v18, v18, 0, 13
	v_and_or_b32 v4, 0x1ff, v5, v4
	v_bfe_u32 v21, v5, 20, 11
	v_or_b32_e32 v11, v20, v11
	v_cndmask_b32_e32 v14, v15, v17, vcc_lo
	v_lshl_or_b32 v15, v12, 12, v2
	v_or_b32_e32 v17, 0x1000, v6
	v_cmp_gt_i32_e32 vcc_lo, 1, v12
	v_lshrrev_b32_e32 v20, 8, v5
	v_and_or_b32 v8, 0x8000, v8, v14
	v_sub_nc_u32_e32 v14, 0x3f1, v21
	v_lshrrev_b32_e32 v5, 16, v5
	v_cndmask_b32_e32 v11, v15, v11, vcc_lo
	v_lshrrev_b32_e32 v15, v18, v17
	v_cmp_ne_u32_e32 vcc_lo, 0, v4
	v_med3_i32 v14, v14, 0, 13
	v_and_b32_e32 v8, 0xffff, v8
	v_and_b32_e32 v23, 7, v11
	v_lshlrev_b32_e32 v18, v18, v15
	v_cndmask_b32_e64 v4, 0, 1, vcc_lo
	v_lshrrev_b32_e32 v11, 2, v11
	v_cmp_lt_i32_e32 vcc_lo, 5, v23
	v_cmp_ne_u32_e64 s0, v18, v17
	v_and_or_b32 v4, 0xffe, v20, v4
	v_add_nc_u32_e32 v20, 0xfffffc10, v22
	v_cndmask_b32_e64 v17, 0, 1, s0
	v_cmp_eq_u32_e64 s0, 3, v23
	v_or_b32_e32 v18, 0x1000, v4
	v_lshl_or_b32 v22, v20, 12, v6
	v_or_b32_e32 v15, v15, v17
	s_or_b32 vcc_lo, s0, vcc_lo
	v_lshrrev_b32_e32 v17, v14, v18
	v_add_co_ci_u32_e32 v11, vcc_lo, 0, v11, vcc_lo
	v_cmp_gt_i32_e32 vcc_lo, 1, v20
	v_lshlrev_b32_e32 v14, v14, v17
	v_cndmask_b32_e32 v15, v22, v15, vcc_lo
	v_cmp_ne_u32_e32 vcc_lo, 0, v2
	v_cndmask_b32_e64 v2, 0, 1, vcc_lo
	v_cmp_ne_u32_e32 vcc_lo, v14, v18
	v_add_nc_u32_e32 v18, 0xfffffc10, v21
	v_and_b32_e32 v21, 7, v15
	v_lshl_or_b32 v2, v2, 9, 0x7c00
	v_cndmask_b32_e64 v14, 0, 1, vcc_lo
	v_cmp_gt_i32_e32 vcc_lo, 31, v12
	v_cmp_gt_i32_e64 s1, 1, v18
	v_cmp_eq_u32_e64 s0, 3, v21
	v_or_b32_e32 v14, v17, v14
	v_lshl_or_b32 v17, v18, 12, v4
	v_cndmask_b32_e32 v11, 0x7c00, v11, vcc_lo
	v_cmp_lt_i32_e32 vcc_lo, 5, v21
	v_cndmask_b32_e64 v14, v17, v14, s1
	v_cmp_eq_u32_e64 s1, 0x40f, v12
	s_or_b32 vcc_lo, s0, vcc_lo
	v_and_b32_e32 v12, 7, v14
	v_cndmask_b32_e64 v2, v11, v2, s1
	v_lshrrev_b32_e32 v11, 2, v15
	v_cmp_gt_i32_e64 s1, 31, v20
	v_cmp_eq_u32_e64 s0, 3, v12
	v_add_co_ci_u32_e32 v11, vcc_lo, 0, v11, vcc_lo
	v_cmp_ne_u32_e32 vcc_lo, 0, v6
	v_cndmask_b32_e64 v11, 0x7c00, v11, s1
	v_cndmask_b32_e64 v6, 0, 1, vcc_lo
	v_cmp_lt_i32_e32 vcc_lo, 5, v12
	v_lshrrev_b32_e32 v12, 2, v14
	v_lshl_or_b32 v6, v6, 9, 0x7c00
	s_or_b32 vcc_lo, s0, vcc_lo
	v_add_co_ci_u32_e32 v12, vcc_lo, 0, v12, vcc_lo
	v_cmp_ne_u32_e32 vcc_lo, 0, v4
	v_cndmask_b32_e64 v4, 0, 1, vcc_lo
	v_cmp_eq_u32_e32 vcc_lo, 0x40f, v20
	v_lshl_or_b32 v4, v4, 9, 0x7c00
	v_cndmask_b32_e32 v6, v11, v6, vcc_lo
	v_cmp_gt_i32_e32 vcc_lo, 31, v18
	v_and_or_b32 v6, 0x8000, v7, v6
	v_cndmask_b32_e32 v11, 0x7c00, v12, vcc_lo
	v_cmp_eq_u32_e32 vcc_lo, 0x40f, v18
	v_and_or_b32 v12, 0x8000, v3, v2
	v_and_b32_e32 v6, 0xffff, v6
	v_cndmask_b32_e32 v4, v11, v4, vcc_lo
	v_add_co_u32 v2, vcc_lo, v9, s17
	v_add_co_ci_u32_e32 v3, vcc_lo, s20, v10, vcc_lo
	v_and_or_b32 v7, 0x8000, v5, v4
	v_add_co_u32 v4, vcc_lo, v2, s17
	v_add_co_ci_u32_e32 v5, vcc_lo, s20, v3, vcc_lo
	v_lshl_or_b32 v11, v7, 16, v6
	v_add_co_u32 v6, vcc_lo, v4, s17
	v_lshl_or_b32 v8, v12, 16, v8
	v_add_co_ci_u32_e32 v7, vcc_lo, s20, v5, vcc_lo
	global_store_dword v[0:1], v13, off
	global_store_dword v[9:10], v19, off
	;; [unrolled: 1-line block ×5, first 2 shown]
.LBB0_23:
	s_endpgm
	.section	.rodata,"a",@progbits
	.p2align	6, 0x0
	.amdhsa_kernel bluestein_single_fwd_len448_dim1_half_op_CI_CI
		.amdhsa_group_segment_fixed_size 3584
		.amdhsa_private_segment_fixed_size 0
		.amdhsa_kernarg_size 104
		.amdhsa_user_sgpr_count 6
		.amdhsa_user_sgpr_private_segment_buffer 1
		.amdhsa_user_sgpr_dispatch_ptr 0
		.amdhsa_user_sgpr_queue_ptr 0
		.amdhsa_user_sgpr_kernarg_segment_ptr 1
		.amdhsa_user_sgpr_dispatch_id 0
		.amdhsa_user_sgpr_flat_scratch_init 0
		.amdhsa_user_sgpr_private_segment_size 0
		.amdhsa_wavefront_size32 1
		.amdhsa_uses_dynamic_stack 0
		.amdhsa_system_sgpr_private_segment_wavefront_offset 0
		.amdhsa_system_sgpr_workgroup_id_x 1
		.amdhsa_system_sgpr_workgroup_id_y 0
		.amdhsa_system_sgpr_workgroup_id_z 0
		.amdhsa_system_sgpr_workgroup_info 0
		.amdhsa_system_vgpr_workitem_id 0
		.amdhsa_next_free_vgpr 72
		.amdhsa_next_free_sgpr 21
		.amdhsa_reserve_vcc 1
		.amdhsa_reserve_flat_scratch 0
		.amdhsa_float_round_mode_32 0
		.amdhsa_float_round_mode_16_64 0
		.amdhsa_float_denorm_mode_32 3
		.amdhsa_float_denorm_mode_16_64 3
		.amdhsa_dx10_clamp 1
		.amdhsa_ieee_mode 1
		.amdhsa_fp16_overflow 0
		.amdhsa_workgroup_processor_mode 1
		.amdhsa_memory_ordered 1
		.amdhsa_forward_progress 0
		.amdhsa_shared_vgpr_count 0
		.amdhsa_exception_fp_ieee_invalid_op 0
		.amdhsa_exception_fp_denorm_src 0
		.amdhsa_exception_fp_ieee_div_zero 0
		.amdhsa_exception_fp_ieee_overflow 0
		.amdhsa_exception_fp_ieee_underflow 0
		.amdhsa_exception_fp_ieee_inexact 0
		.amdhsa_exception_int_div_zero 0
	.end_amdhsa_kernel
	.text
.Lfunc_end0:
	.size	bluestein_single_fwd_len448_dim1_half_op_CI_CI, .Lfunc_end0-bluestein_single_fwd_len448_dim1_half_op_CI_CI
                                        ; -- End function
	.section	.AMDGPU.csdata,"",@progbits
; Kernel info:
; codeLenInByte = 10612
; NumSgprs: 23
; NumVgprs: 72
; ScratchSize: 0
; MemoryBound: 0
; FloatMode: 240
; IeeeMode: 1
; LDSByteSize: 3584 bytes/workgroup (compile time only)
; SGPRBlocks: 2
; VGPRBlocks: 8
; NumSGPRsForWavesPerEU: 23
; NumVGPRsForWavesPerEU: 72
; Occupancy: 12
; WaveLimiterHint : 1
; COMPUTE_PGM_RSRC2:SCRATCH_EN: 0
; COMPUTE_PGM_RSRC2:USER_SGPR: 6
; COMPUTE_PGM_RSRC2:TRAP_HANDLER: 0
; COMPUTE_PGM_RSRC2:TGID_X_EN: 1
; COMPUTE_PGM_RSRC2:TGID_Y_EN: 0
; COMPUTE_PGM_RSRC2:TGID_Z_EN: 0
; COMPUTE_PGM_RSRC2:TIDIG_COMP_CNT: 0
	.text
	.p2alignl 6, 3214868480
	.fill 48, 4, 3214868480
	.type	__hip_cuid_714742c027a7b2dd,@object ; @__hip_cuid_714742c027a7b2dd
	.section	.bss,"aw",@nobits
	.globl	__hip_cuid_714742c027a7b2dd
__hip_cuid_714742c027a7b2dd:
	.byte	0                               ; 0x0
	.size	__hip_cuid_714742c027a7b2dd, 1

	.ident	"AMD clang version 19.0.0git (https://github.com/RadeonOpenCompute/llvm-project roc-6.4.0 25133 c7fe45cf4b819c5991fe208aaa96edf142730f1d)"
	.section	".note.GNU-stack","",@progbits
	.addrsig
	.addrsig_sym __hip_cuid_714742c027a7b2dd
	.amdgpu_metadata
---
amdhsa.kernels:
  - .args:
      - .actual_access:  read_only
        .address_space:  global
        .offset:         0
        .size:           8
        .value_kind:     global_buffer
      - .actual_access:  read_only
        .address_space:  global
        .offset:         8
        .size:           8
        .value_kind:     global_buffer
      - .actual_access:  read_only
        .address_space:  global
        .offset:         16
        .size:           8
        .value_kind:     global_buffer
      - .actual_access:  read_only
        .address_space:  global
        .offset:         24
        .size:           8
        .value_kind:     global_buffer
      - .actual_access:  read_only
        .address_space:  global
        .offset:         32
        .size:           8
        .value_kind:     global_buffer
      - .offset:         40
        .size:           8
        .value_kind:     by_value
      - .address_space:  global
        .offset:         48
        .size:           8
        .value_kind:     global_buffer
      - .address_space:  global
        .offset:         56
        .size:           8
        .value_kind:     global_buffer
      - .address_space:  global
        .offset:         64
        .size:           8
        .value_kind:     global_buffer
      - .address_space:  global
        .offset:         72
        .size:           8
        .value_kind:     global_buffer
      - .offset:         80
        .size:           4
        .value_kind:     by_value
      - .address_space:  global
        .offset:         88
        .size:           8
        .value_kind:     global_buffer
      - .address_space:  global
        .offset:         96
        .size:           8
        .value_kind:     global_buffer
    .group_segment_fixed_size: 3584
    .kernarg_segment_align: 8
    .kernarg_segment_size: 104
    .language:       OpenCL C
    .language_version:
      - 2
      - 0
    .max_flat_workgroup_size: 128
    .name:           bluestein_single_fwd_len448_dim1_half_op_CI_CI
    .private_segment_fixed_size: 0
    .sgpr_count:     23
    .sgpr_spill_count: 0
    .symbol:         bluestein_single_fwd_len448_dim1_half_op_CI_CI.kd
    .uniform_work_group_size: 1
    .uses_dynamic_stack: false
    .vgpr_count:     72
    .vgpr_spill_count: 0
    .wavefront_size: 32
    .workgroup_processor_mode: 1
amdhsa.target:   amdgcn-amd-amdhsa--gfx1030
amdhsa.version:
  - 1
  - 2
...

	.end_amdgpu_metadata
